;; amdgpu-corpus repo=ROCm/rocFFT kind=compiled arch=gfx1201 opt=O3
	.text
	.amdgcn_target "amdgcn-amd-amdhsa--gfx1201"
	.amdhsa_code_object_version 6
	.protected	bluestein_single_back_len510_dim1_dp_op_CI_CI ; -- Begin function bluestein_single_back_len510_dim1_dp_op_CI_CI
	.globl	bluestein_single_back_len510_dim1_dp_op_CI_CI
	.p2align	8
	.type	bluestein_single_back_len510_dim1_dp_op_CI_CI,@function
bluestein_single_back_len510_dim1_dp_op_CI_CI: ; @bluestein_single_back_len510_dim1_dp_op_CI_CI
; %bb.0:
	s_load_b128 s[4:7], s[0:1], 0x28
	v_mul_u32_u24_e32 v1, 0x788, v0
	s_mov_b32 s2, exec_lo
	s_delay_alu instid0(VALU_DEP_1) | instskip(NEXT) | instid1(VALU_DEP_1)
	v_lshrrev_b32_e32 v1, 16, v1
	v_mad_co_u64_u32 v[192:193], null, ttmp9, 7, v[1:2]
	v_mov_b32_e32 v193, 0
                                        ; kill: def $vgpr2 killed $sgpr0 killed $exec
	s_wait_kmcnt 0x0
	s_delay_alu instid0(VALU_DEP_1)
	v_cmpx_gt_u64_e64 s[4:5], v[192:193]
	s_cbranch_execz .LBB0_23
; %bb.1:
	v_mul_hi_u32 v2, 0x24924925, v192
	v_mul_lo_u16 v1, v1, 34
	s_clause 0x1
	s_load_b64 s[12:13], s[0:1], 0x0
	s_load_b64 s[14:15], s[0:1], 0x38
	s_delay_alu instid0(VALU_DEP_1) | instskip(NEXT) | instid1(VALU_DEP_3)
	v_sub_nc_u16 v0, v0, v1
	v_sub_nc_u32_e32 v3, v192, v2
	s_delay_alu instid0(VALU_DEP_2) | instskip(SKIP_1) | instid1(VALU_DEP_3)
	v_and_b32_e32 v243, 0xffff, v0
	v_cmp_gt_u16_e32 vcc_lo, 30, v0
	v_lshrrev_b32_e32 v3, 1, v3
	s_delay_alu instid0(VALU_DEP_3) | instskip(SKIP_1) | instid1(VALU_DEP_3)
	v_lshlrev_b32_e32 v255, 4, v243
	v_or_b32_e32 v0, 0x1e0, v243
	v_add_nc_u32_e32 v2, v3, v2
	scratch_store_b32 off, v0, off offset:396 ; 4-byte Folded Spill
	v_lshrrev_b32_e32 v2, 2, v2
	s_delay_alu instid0(VALU_DEP_1) | instskip(NEXT) | instid1(VALU_DEP_1)
	v_mul_lo_u32 v2, v2, 7
	v_sub_nc_u32_e32 v1, v192, v2
	s_delay_alu instid0(VALU_DEP_1) | instskip(NEXT) | instid1(VALU_DEP_1)
	v_mul_u32_u24_e32 v241, 0x1fe, v1
	v_lshlrev_b32_e32 v244, 4, v241
	s_and_saveexec_b32 s3, vcc_lo
	s_cbranch_execz .LBB0_3
; %bb.2:
	s_load_b64 s[4:5], s[0:1], 0x18
	v_or_b32_e32 v66, 0x1e0, v243
	s_wait_kmcnt 0x0
	s_load_b128 s[8:11], s[4:5], 0x0
	s_clause 0x7
	global_load_b128 v[0:3], v255, s[12:13]
	global_load_b128 v[4:7], v255, s[12:13] offset:480
	global_load_b128 v[8:11], v255, s[12:13] offset:960
	;; [unrolled: 1-line block ×7, first 2 shown]
	s_wait_kmcnt 0x0
	v_mad_co_u64_u32 v[56:57], null, s10, v192, 0
	v_mad_co_u64_u32 v[60:61], null, s8, v243, 0
	;; [unrolled: 1-line block ×3, first 2 shown]
	s_mul_u64 s[4:5], s[8:9], 0x1e0
	s_delay_alu instid0(VALU_DEP_2) | instskip(NEXT) | instid1(VALU_DEP_1)
	v_dual_mov_b32 v32, v57 :: v_dual_mov_b32 v33, v61
	v_mad_co_u64_u32 v[48:49], null, s11, v192, v[32:33]
	v_mad_co_u64_u32 v[58:59], null, s9, v243, v[33:34]
	s_clause 0x3
	global_load_b128 v[32:35], v255, s[12:13] offset:3840
	global_load_b128 v[36:39], v255, s[12:13] offset:4320
	;; [unrolled: 1-line block ×4, first 2 shown]
	v_mov_b32_e32 v57, v48
	s_clause 0x1
	global_load_b128 v[48:51], v255, s[12:13] offset:5760
	global_load_b128 v[52:55], v255, s[12:13] offset:6240
	v_mov_b32_e32 v61, v58
	v_lshlrev_b64_e32 v[64:65], 4, v[56:57]
	global_load_b128 v[56:59], v255, s[12:13] offset:7680
	v_lshlrev_b64_e32 v[60:61], 4, v[60:61]
	v_mad_co_u64_u32 v[66:67], null, s9, v66, v[63:64]
	v_add_co_u32 v67, s2, s6, v64
	s_delay_alu instid0(VALU_DEP_1) | instskip(NEXT) | instid1(VALU_DEP_2)
	v_add_co_ci_u32_e64 v70, s2, s7, v65, s2
	v_add_co_u32 v64, s2, v67, v60
	s_wait_alu 0xf1ff
	s_delay_alu instid0(VALU_DEP_2)
	v_add_co_ci_u32_e64 v65, s2, v70, v61, s2
	v_mov_b32_e32 v63, v66
	s_wait_alu 0xfffe
	v_add_co_u32 v68, s2, v64, s4
	s_wait_alu 0xf1ff
	v_add_co_ci_u32_e64 v69, s2, s5, v65, s2
	v_lshlrev_b64_e32 v[60:61], 4, v[62:63]
	s_delay_alu instid0(VALU_DEP_3) | instskip(SKIP_1) | instid1(VALU_DEP_3)
	v_add_co_u32 v72, s2, v68, s4
	s_wait_alu 0xf1ff
	v_add_co_ci_u32_e64 v73, s2, s5, v69, s2
	s_delay_alu instid0(VALU_DEP_3)
	v_add_co_u32 v60, s2, v67, v60
	s_wait_alu 0xf1ff
	v_add_co_ci_u32_e64 v61, s2, v70, v61, s2
	v_add_co_u32 v76, s2, v72, s4
	s_wait_alu 0xf1ff
	v_add_co_ci_u32_e64 v77, s2, s5, v73, s2
	global_load_b128 v[60:63], v[60:61], off
	v_add_co_u32 v80, s2, v76, s4
	s_wait_alu 0xf1ff
	v_add_co_ci_u32_e64 v81, s2, s5, v77, s2
	s_clause 0x1
	global_load_b128 v[64:67], v[64:65], off
	global_load_b128 v[68:71], v[68:69], off
	v_add_co_u32 v84, s2, v80, s4
	s_wait_alu 0xf1ff
	v_add_co_ci_u32_e64 v85, s2, s5, v81, s2
	s_clause 0x1
	global_load_b128 v[72:75], v[72:73], off
	global_load_b128 v[76:79], v[76:77], off
	v_add_co_u32 v88, s2, v84, s4
	s_wait_alu 0xf1ff
	v_add_co_ci_u32_e64 v89, s2, s5, v85, s2
	global_load_b128 v[80:83], v[80:81], off
	v_add_co_u32 v92, s2, v88, s4
	s_wait_alu 0xf1ff
	v_add_co_ci_u32_e64 v93, s2, s5, v89, s2
	;; [unrolled: 4-line block ×10, first 2 shown]
	global_load_b128 v[116:119], v[116:117], off
	global_load_b128 v[120:123], v[120:121], off
	s_clause 0x1
	global_load_b128 v[124:127], v255, s[12:13] offset:6720
	global_load_b128 v[128:131], v255, s[12:13] offset:7200
	global_load_b128 v[132:135], v[132:133], off
	s_wait_loadcnt 0x12
	v_mul_f64_e32 v[138:139], v[62:63], v[58:59]
	v_mul_f64_e32 v[170:171], v[60:61], v[58:59]
	s_wait_loadcnt 0x11
	v_mul_f64_e32 v[136:137], v[66:67], v[2:3]
	v_mul_f64_e32 v[2:3], v[64:65], v[2:3]
	;; [unrolled: 3-line block ×11, first 2 shown]
	v_fma_f64 v[64:65], v[64:65], v[0:1], v[136:137]
	v_fma_f64 v[66:67], v[66:67], v[0:1], -v[2:3]
	v_fma_f64 v[0:1], v[60:61], v[56:57], v[138:139]
	s_wait_loadcnt 0x7
	v_mul_f64_e32 v[158:159], v[106:107], v[42:43]
	v_mul_f64_e32 v[42:43], v[104:105], v[42:43]
	v_fma_f64 v[58:59], v[68:69], v[4:5], v[140:141]
	v_fma_f64 v[60:61], v[70:71], v[4:5], -v[6:7]
	v_fma_f64 v[4:5], v[72:73], v[8:9], v[142:143]
	s_wait_loadcnt 0x6
	v_mul_f64_e32 v[160:161], v[110:111], v[46:47]
	v_mul_f64_e32 v[46:47], v[108:109], v[46:47]
	v_fma_f64 v[6:7], v[74:75], v[8:9], -v[10:11]
	v_fma_f64 v[8:9], v[76:77], v[12:13], v[144:145]
	v_fma_f64 v[10:11], v[78:79], v[12:13], -v[14:15]
	s_wait_loadcnt 0x5
	v_mul_f64_e32 v[162:163], v[114:115], v[50:51]
	v_mul_f64_e32 v[50:51], v[112:113], v[50:51]
	s_wait_loadcnt 0x4
	v_mul_f64_e32 v[164:165], v[118:119], v[54:55]
	v_mul_f64_e32 v[54:55], v[116:117], v[54:55]
	;; [unrolled: 3-line block ×4, first 2 shown]
	v_fma_f64 v[12:13], v[80:81], v[16:17], v[146:147]
	v_fma_f64 v[14:15], v[82:83], v[16:17], -v[18:19]
	v_fma_f64 v[16:17], v[84:85], v[20:21], v[148:149]
	v_fma_f64 v[18:19], v[86:87], v[20:21], -v[22:23]
	v_fma_f64 v[20:21], v[88:89], v[24:25], v[150:151]
	v_fma_f64 v[22:23], v[90:91], v[24:25], -v[26:27]
	v_fma_f64 v[24:25], v[92:93], v[28:29], v[152:153]
	v_fma_f64 v[26:27], v[94:95], v[28:29], -v[30:31]
	v_fma_f64 v[2:3], v[62:63], v[56:57], -v[170:171]
	v_lshl_add_u32 v56, v243, 4, v244
	v_fma_f64 v[28:29], v[96:97], v[32:33], v[154:155]
	v_fma_f64 v[30:31], v[98:99], v[32:33], -v[34:35]
	v_add_nc_u32_e32 v57, v244, v255
	v_fma_f64 v[32:33], v[100:101], v[36:37], v[156:157]
	v_fma_f64 v[34:35], v[102:103], v[36:37], -v[38:39]
	v_fma_f64 v[36:37], v[104:105], v[40:41], v[158:159]
	v_fma_f64 v[38:39], v[106:107], v[40:41], -v[42:43]
	;; [unrolled: 2-line block ×7, first 2 shown]
	ds_store_b128 v56, v[64:67]
	ds_store_b128 v57, v[58:61] offset:480
	ds_store_b128 v57, v[4:7] offset:960
	;; [unrolled: 1-line block ×16, first 2 shown]
.LBB0_3:
	s_or_b32 exec_lo, exec_lo, s3
	global_wb scope:SCOPE_SE
	s_wait_storecnt_dscnt 0x0
	s_wait_kmcnt 0x0
	s_barrier_signal -1
	s_barrier_wait -1
	global_inv scope:SCOPE_SE
                                        ; implicit-def: $vgpr4_vgpr5
                                        ; implicit-def: $vgpr24_vgpr25
                                        ; implicit-def: $vgpr28_vgpr29
                                        ; implicit-def: $vgpr32_vgpr33
                                        ; implicit-def: $vgpr44_vgpr45
                                        ; implicit-def: $vgpr52_vgpr53
                                        ; implicit-def: $vgpr56_vgpr57
                                        ; implicit-def: $vgpr64_vgpr65
                                        ; implicit-def: $vgpr72_vgpr73
                                        ; implicit-def: $vgpr76_vgpr77
                                        ; implicit-def: $vgpr68_vgpr69
                                        ; implicit-def: $vgpr60_vgpr61
                                        ; implicit-def: $vgpr48_vgpr49
                                        ; implicit-def: $vgpr20_vgpr21
                                        ; implicit-def: $vgpr16_vgpr17
                                        ; implicit-def: $vgpr12_vgpr13
                                        ; implicit-def: $vgpr8_vgpr9
	s_and_saveexec_b32 s2, vcc_lo
	s_cbranch_execz .LBB0_5
; %bb.4:
	v_lshl_add_u32 v0, v241, 4, v255
	ds_load_b128 v[4:7], v0
	ds_load_b128 v[24:27], v0 offset:480
	ds_load_b128 v[28:31], v0 offset:960
	;; [unrolled: 1-line block ×16, first 2 shown]
.LBB0_5:
	s_wait_alu 0xfffe
	s_or_b32 exec_lo, exec_lo, s2
	s_wait_dscnt 0x0
	v_add_f64_e64 v[164:165], v[26:27], -v[10:11]
	s_mov_b32 s6, 0x5d8e7cdc
	s_mov_b32 s7, 0xbfd71e95
	v_add_f64_e32 v[156:157], v[24:25], v[8:9]
	v_add_f64_e64 v[94:95], v[30:31], -v[14:15]
	s_mov_b32 s8, 0x2a9d6da3
	s_mov_b32 s16, 0x370991
	;; [unrolled: 1-line block ×4, first 2 shown]
	v_add_f64_e32 v[80:81], v[28:29], v[12:13]
	v_add_f64_e64 v[174:175], v[24:25], -v[8:9]
	s_mov_b32 s10, 0x75d4884
	s_mov_b32 s11, 0x3fe7a5f6
	v_add_f64_e32 v[170:171], v[26:27], v[10:11]
	v_add_f64_e64 v[92:93], v[28:29], -v[12:13]
	v_add_f64_e32 v[84:85], v[30:31], v[14:15]
	v_add_f64_e64 v[110:111], v[34:35], -v[18:19]
	s_mov_b32 s20, 0x7c9e640b
	s_mov_b32 s21, 0xbfeca52d
	v_add_f64_e32 v[88:89], v[32:33], v[16:17]
	v_add_f64_e64 v[104:105], v[32:33], -v[16:17]
	s_mov_b32 s18, 0x2b2883cd
	s_mov_b32 s19, 0x3fdc86fa
	;; [unrolled: 4-line block ×5, first 2 shown]
	s_mov_b32 s29, 0xbfeec746
	s_mov_b32 s28, s40
	v_add_f64_e32 v[106:107], v[52:53], v[48:49]
	s_wait_alu 0xfffe
	v_mul_f64_e32 v[158:159], s[6:7], v[164:165]
	v_add_f64_e64 v[136:137], v[52:53], -v[48:49]
	s_mov_b32 s26, 0xc61f0d01
	s_mov_b32 s27, 0xbfd183b1
	v_mul_f64_e32 v[82:83], s[8:9], v[94:95]
	v_add_f64_e32 v[122:123], v[54:55], v[50:51]
	v_add_f64_e64 v[160:161], v[58:59], -v[62:63]
	s_mov_b32 s36, 0x6c9a05f6
	s_mov_b32 s37, 0xbfe9895b
	v_add_f64_e32 v[118:119], v[56:57], v[60:61]
	v_mul_f64_e32 v[172:173], s[6:7], v[174:175]
	v_add_f64_e64 v[152:153], v[56:57], -v[60:61]
	s_mov_b32 s30, 0x6ed5f1bb
	s_mov_b32 s31, 0xbfe348c8
	v_mul_f64_e32 v[86:87], s[8:9], v[92:93]
	v_add_f64_e32 v[132:133], v[58:59], v[62:63]
	v_mul_f64_e32 v[90:91], s[20:21], v[110:111]
	v_add_f64_e64 v[166:167], v[66:67], -v[70:71]
	s_mov_b32 s42, 0x4363dd80
	s_mov_b32 s43, 0x3fe0d888
	v_mul_f64_e32 v[98:99], s[20:21], v[104:105]
	s_mov_b32 s47, 0xbfe0d888
	s_mov_b32 s46, s42
	v_add_f64_e32 v[128:129], v[64:65], v[68:69]
	v_mul_f64_e32 v[102:103], s[24:25], v[126:127]
	v_add_f64_e64 v[154:155], v[64:65], -v[68:69]
	s_mov_b32 s34, 0x910ea3b9
	s_mov_b32 s35, 0xbfeb34fa
	v_mul_f64_e32 v[114:115], s[24:25], v[116:117]
	v_add_f64_e32 v[142:143], v[66:67], v[70:71]
	v_add_f64_e64 v[168:169], v[74:75], -v[78:79]
	s_mov_b32 s44, 0xacd6c6b4
	v_mul_f64_e32 v[108:109], s[28:29], v[146:147]
	s_mov_b32 s45, 0x3fc7851a
	s_mov_b32 s51, 0xbfc7851a
	;; [unrolled: 1-line block ×3, first 2 shown]
	v_add_f64_e32 v[138:139], v[72:73], v[76:77]
	v_add_f64_e64 v[162:163], v[72:73], -v[76:77]
	v_fma_f64 v[0:1], v[156:157], s[16:17], v[158:159]
	v_mul_f64_e32 v[124:125], s[28:29], v[136:137]
	s_mov_b32 s38, 0x7faef3
	s_mov_b32 s39, 0xbfef7484
	v_fma_f64 v[2:3], v[80:81], s[10:11], v[82:83]
	v_add_f64_e32 v[148:149], v[74:75], v[78:79]
	v_mul_f64_e32 v[120:121], s[36:37], v[160:161]
	v_mul_f64_e32 v[233:234], s[8:9], v[164:165]
	;; [unrolled: 1-line block ×8, first 2 shown]
	v_fma_f64 v[36:37], v[84:85], s[10:11], -v[86:87]
	v_mul_f64_e32 v[186:187], s[50:51], v[126:127]
	v_mul_f64_e32 v[211:212], s[50:51], v[116:117]
	;; [unrolled: 1-line block ×7, first 2 shown]
	s_mov_b32 s49, 0x3feca52d
	s_mov_b32 s48, s20
	;; [unrolled: 1-line block ×3, first 2 shown]
	v_mul_f64_e32 v[144:145], s[46:47], v[154:155]
	v_mul_f64_e32 v[193:194], s[48:49], v[166:167]
	v_mul_f64_e32 v[203:204], s[48:49], v[154:155]
	s_mov_b32 s52, s6
	v_mul_f64_e32 v[237:238], s[20:21], v[164:165]
	v_mul_f64_e32 v[140:141], s[50:51], v[168:169]
	;; [unrolled: 1-line block ×9, first 2 shown]
	v_add_f64_e32 v[0:1], v[4:5], v[0:1]
	v_mul_f64_e32 v[205:206], s[52:53], v[162:163]
	v_mul_f64_e32 v[207:208], s[40:41], v[126:127]
	;; [unrolled: 1-line block ×3, first 2 shown]
	s_mov_b32 s55, 0x3fe58eea
	s_mov_b32 s54, s8
	v_mul_f64_e32 v[217:218], s[6:7], v[160:161]
	v_mul_f64_e32 v[225:226], s[54:55], v[146:147]
	v_mul_f64_e32 v[231:232], s[54:55], v[136:137]
	v_mul_f64_e32 v[229:230], s[6:7], v[152:153]
	v_mul_f64_e32 v[213:214], s[24:25], v[166:167]
	v_mul_f64_e32 v[223:224], s[24:25], v[154:155]
	v_mul_f64_e32 v[209:210], s[46:47], v[168:169]
	v_mul_f64_e32 v[219:220], s[46:47], v[162:163]
	s_clause 0x1
	s_load_b64 s[4:5], s[0:1], 0x20
	s_load_b64 s[2:3], s[0:1], 0x8
	global_wb scope:SCOPE_SE
	s_wait_kmcnt 0x0
	s_barrier_signal -1
	s_barrier_wait -1
	global_inv scope:SCOPE_SE
	v_add_f64_e32 v[0:1], v[2:3], v[0:1]
	v_fma_f64 v[2:3], v[170:171], s[16:17], -v[172:173]
	s_delay_alu instid0(VALU_DEP_1) | instskip(NEXT) | instid1(VALU_DEP_1)
	v_add_f64_e32 v[2:3], v[6:7], v[2:3]
	v_add_f64_e32 v[2:3], v[36:37], v[2:3]
	v_fma_f64 v[36:37], v[88:89], s[18:19], v[90:91]
	s_delay_alu instid0(VALU_DEP_1) | instskip(SKIP_1) | instid1(VALU_DEP_1)
	v_add_f64_e32 v[0:1], v[36:37], v[0:1]
	v_fma_f64 v[36:37], v[96:97], s[18:19], -v[98:99]
	v_add_f64_e32 v[2:3], v[36:37], v[2:3]
	v_fma_f64 v[36:37], v[100:101], s[22:23], v[102:103]
	s_delay_alu instid0(VALU_DEP_1) | instskip(SKIP_1) | instid1(VALU_DEP_1)
	v_add_f64_e32 v[0:1], v[36:37], v[0:1]
	v_fma_f64 v[36:37], v[112:113], s[22:23], -v[114:115]
	;; [unrolled: 5-line block ×5, first 2 shown]
	v_add_f64_e32 v[2:3], v[36:37], v[2:3]
	v_fma_f64 v[36:37], v[138:139], s[38:39], v[140:141]
	s_delay_alu instid0(VALU_DEP_1) | instskip(SKIP_2) | instid1(VALU_DEP_2)
	v_add_f64_e32 v[245:246], v[36:37], v[0:1]
	v_fma_f64 v[0:1], v[148:149], s[38:39], -v[150:151]
	v_fma_f64 v[36:37], v[84:85], s[22:23], -v[182:183]
	v_add_f64_e32 v[247:248], v[0:1], v[2:3]
	v_fma_f64 v[0:1], v[156:157], s[10:11], v[233:234]
	v_fma_f64 v[2:3], v[80:81], s[22:23], v[176:177]
	s_delay_alu instid0(VALU_DEP_2) | instskip(NEXT) | instid1(VALU_DEP_1)
	v_add_f64_e32 v[0:1], v[4:5], v[0:1]
	v_add_f64_e32 v[0:1], v[2:3], v[0:1]
	v_fma_f64 v[2:3], v[170:171], s[10:11], -v[235:236]
	s_delay_alu instid0(VALU_DEP_1) | instskip(NEXT) | instid1(VALU_DEP_1)
	v_add_f64_e32 v[2:3], v[6:7], v[2:3]
	v_add_f64_e32 v[2:3], v[36:37], v[2:3]
	v_fma_f64 v[36:37], v[88:89], s[30:31], v[180:181]
	s_delay_alu instid0(VALU_DEP_1) | instskip(SKIP_1) | instid1(VALU_DEP_1)
	v_add_f64_e32 v[0:1], v[36:37], v[0:1]
	v_fma_f64 v[36:37], v[96:97], s[30:31], -v[197:198]
	v_add_f64_e32 v[2:3], v[36:37], v[2:3]
	v_fma_f64 v[36:37], v[100:101], s[38:39], v[186:187]
	s_delay_alu instid0(VALU_DEP_1) | instskip(SKIP_1) | instid1(VALU_DEP_1)
	v_add_f64_e32 v[0:1], v[36:37], v[0:1]
	v_fma_f64 v[36:37], v[112:113], s[38:39], -v[211:212]
	;; [unrolled: 5-line block ×5, first 2 shown]
	v_add_f64_e32 v[2:3], v[36:37], v[2:3]
	v_fma_f64 v[36:37], v[138:139], s[16:17], v[195:196]
	s_delay_alu instid0(VALU_DEP_1) | instskip(SKIP_2) | instid1(VALU_DEP_2)
	v_add_f64_e32 v[40:41], v[36:37], v[0:1]
	v_fma_f64 v[0:1], v[148:149], s[16:17], -v[205:206]
	v_fma_f64 v[36:37], v[84:85], s[30:31], -v[199:200]
	v_add_f64_e32 v[42:43], v[0:1], v[2:3]
	v_fma_f64 v[0:1], v[156:157], s[18:19], v[237:238]
	v_fma_f64 v[2:3], v[80:81], s[30:31], v[178:179]
	s_delay_alu instid0(VALU_DEP_2) | instskip(NEXT) | instid1(VALU_DEP_1)
	v_add_f64_e32 v[0:1], v[4:5], v[0:1]
	v_add_f64_e32 v[0:1], v[2:3], v[0:1]
	v_fma_f64 v[2:3], v[170:171], s[18:19], -v[239:240]
	s_delay_alu instid0(VALU_DEP_1) | instskip(NEXT) | instid1(VALU_DEP_1)
	v_add_f64_e32 v[2:3], v[6:7], v[2:3]
	v_add_f64_e32 v[2:3], v[36:37], v[2:3]
	v_fma_f64 v[36:37], v[88:89], s[38:39], v[184:185]
	s_delay_alu instid0(VALU_DEP_1) | instskip(SKIP_1) | instid1(VALU_DEP_1)
	v_add_f64_e32 v[0:1], v[36:37], v[0:1]
	v_fma_f64 v[36:37], v[96:97], s[38:39], -v[215:216]
	v_add_f64_e32 v[2:3], v[36:37], v[2:3]
	v_fma_f64 v[36:37], v[100:101], s[26:27], v[207:208]
	s_delay_alu instid0(VALU_DEP_1) | instskip(SKIP_1) | instid1(VALU_DEP_1)
	v_add_f64_e32 v[0:1], v[36:37], v[0:1]
	v_fma_f64 v[36:37], v[112:113], s[26:27], -v[227:228]
	;; [unrolled: 5-line block ×6, first 2 shown]
	v_add_f64_e32 v[38:39], v[0:1], v[2:3]
	s_and_saveexec_b32 s33, vcc_lo
	s_cbranch_execz .LBB0_7
; %bb.6:
	v_add_f64_e32 v[0:1], v[6:7], v[26:27]
	v_add_f64_e32 v[2:3], v[4:5], v[24:25]
	v_mul_f64_e32 v[24:25], s[22:23], v[170:171]
	s_mov_b32 s1, 0x3fe9895b
	s_mov_b32 s0, s36
	;; [unrolled: 1-line block ×4, first 2 shown]
	s_delay_alu instid0(VALU_DEP_3) | instskip(NEXT) | instid1(VALU_DEP_3)
	v_add_f64_e32 v[0:1], v[0:1], v[30:31]
	v_add_f64_e32 v[2:3], v[2:3], v[28:29]
	v_mul_f64_e32 v[30:31], s[18:19], v[156:157]
	s_delay_alu instid0(VALU_DEP_4)
	v_fma_f64 v[26:27], v[174:175], s[56:57], v[24:25]
	v_mul_f64_e32 v[28:29], s[18:19], v[170:171]
	v_fma_f64 v[24:25], v[174:175], s[24:25], v[24:25]
	v_add_f64_e32 v[0:1], v[0:1], v[34:35]
	v_add_f64_e32 v[2:3], v[2:3], v[32:33]
	v_mul_f64_e32 v[34:35], s[10:11], v[156:157]
	v_add_f64_e64 v[30:31], v[30:31], -v[237:238]
	v_mul_f64_e32 v[32:33], s[10:11], v[170:171]
	v_add_f64_e32 v[28:29], v[239:240], v[28:29]
	v_add_f64_e32 v[0:1], v[0:1], v[46:47]
	;; [unrolled: 1-line block ×3, first 2 shown]
	v_mul_f64_e32 v[46:47], s[50:51], v[164:165]
	v_add_f64_e64 v[34:35], v[34:35], -v[233:234]
	v_mul_f64_e32 v[44:45], s[16:17], v[170:171]
	v_add_f64_e32 v[32:33], v[235:236], v[32:33]
	v_add_f64_e32 v[30:31], v[4:5], v[30:31]
	;; [unrolled: 1-line block ×5, first 2 shown]
	v_mul_f64_e32 v[52:53], s[28:29], v[164:165]
	v_mul_f64_e32 v[54:55], s[24:25], v[164:165]
	v_add_f64_e32 v[44:45], v[172:173], v[44:45]
	v_mul_f64_e32 v[172:173], s[28:29], v[166:167]
	v_add_f64_e32 v[0:1], v[0:1], v[58:59]
	v_add_f64_e32 v[2:3], v[2:3], v[56:57]
	v_fma_f64 v[56:57], v[156:157], s[38:39], v[46:47]
	v_fma_f64 v[46:47], v[156:157], s[38:39], -v[46:47]
	s_delay_alu instid0(VALU_DEP_4) | instskip(NEXT) | instid1(VALU_DEP_4)
	v_add_f64_e32 v[0:1], v[0:1], v[66:67]
	v_add_f64_e32 v[2:3], v[2:3], v[64:65]
	v_mul_f64_e32 v[66:67], s[16:17], v[156:157]
	v_fma_f64 v[64:65], v[156:157], s[22:23], v[54:55]
	v_fma_f64 v[54:55], v[156:157], s[22:23], -v[54:55]
	v_add_f64_e32 v[56:57], v[4:5], v[56:57]
	v_add_f64_e32 v[46:47], v[4:5], v[46:47]
	;; [unrolled: 1-line block ×4, first 2 shown]
	v_add_f64_e64 v[66:67], v[66:67], -v[158:159]
	v_add_f64_e32 v[64:65], v[4:5], v[64:65]
	v_add_f64_e32 v[54:55], v[4:5], v[54:55]
	;; [unrolled: 1-line block ×4, first 2 shown]
	v_mul_f64_e32 v[32:33], s[30:31], v[122:123]
	v_add_f64_e32 v[0:1], v[0:1], v[78:79]
	v_add_f64_e32 v[2:3], v[2:3], v[76:77]
	;; [unrolled: 1-line block ×3, first 2 shown]
	s_delay_alu instid0(VALU_DEP_3) | instskip(NEXT) | instid1(VALU_DEP_3)
	v_add_f64_e32 v[0:1], v[0:1], v[70:71]
	v_add_f64_e32 v[2:3], v[2:3], v[68:69]
	s_delay_alu instid0(VALU_DEP_2) | instskip(NEXT) | instid1(VALU_DEP_2)
	v_add_f64_e32 v[0:1], v[0:1], v[62:63]
	v_add_f64_e32 v[2:3], v[2:3], v[60:61]
	v_fma_f64 v[62:63], v[156:157], s[26:27], v[52:53]
	v_fma_f64 v[52:53], v[156:157], s[26:27], -v[52:53]
	s_delay_alu instid0(VALU_DEP_4) | instskip(NEXT) | instid1(VALU_DEP_4)
	v_add_f64_e32 v[0:1], v[0:1], v[50:51]
	v_add_f64_e32 v[2:3], v[2:3], v[48:49]
	v_mul_f64_e32 v[48:49], s[46:47], v[164:165]
	v_mul_f64_e32 v[50:51], s[36:37], v[164:165]
	v_add_f64_e32 v[62:63], v[4:5], v[62:63]
	v_add_f64_e32 v[52:53], v[4:5], v[52:53]
	;; [unrolled: 1-line block ×3, first 2 shown]
	v_mul_f64_e32 v[44:45], s[18:19], v[132:133]
	v_add_f64_e32 v[0:1], v[0:1], v[22:23]
	v_add_f64_e32 v[2:3], v[2:3], v[20:21]
	v_mul_f64_e32 v[20:21], s[26:27], v[170:171]
	v_fma_f64 v[58:59], v[156:157], s[34:35], v[48:49]
	v_fma_f64 v[48:49], v[156:157], s[34:35], -v[48:49]
	v_fma_f64 v[60:61], v[156:157], s[30:31], v[50:51]
	v_fma_f64 v[50:51], v[156:157], s[30:31], -v[50:51]
	v_add_f64_e32 v[156:157], v[6:7], v[26:27]
	v_add_f64_e32 v[26:27], v[4:5], v[34:35]
	v_mul_f64_e32 v[34:35], s[36:37], v[146:147]
	v_add_f64_e32 v[0:1], v[0:1], v[18:19]
	v_add_f64_e32 v[2:3], v[2:3], v[16:17]
	v_mul_f64_e32 v[16:17], s[30:31], v[170:171]
	v_fma_f64 v[22:23], v[174:175], s[40:41], v[20:21]
	v_fma_f64 v[20:21], v[174:175], s[28:29], v[20:21]
	v_add_f64_e32 v[58:59], v[4:5], v[58:59]
	v_add_f64_e32 v[48:49], v[4:5], v[48:49]
	v_add_f64_e32 v[60:61], v[4:5], v[60:61]
	v_add_f64_e32 v[50:51], v[4:5], v[50:51]
	v_add_f64_e32 v[0:1], v[0:1], v[14:15]
	v_add_f64_e32 v[2:3], v[2:3], v[12:13]
	v_mul_f64_e32 v[12:13], s[34:35], v[170:171]
	s_wait_alu 0xfffe
	v_fma_f64 v[18:19], v[174:175], s[0:1], v[16:17]
	v_fma_f64 v[16:17], v[174:175], s[36:37], v[16:17]
	v_add_f64_e32 v[76:77], v[6:7], v[22:23]
	v_add_f64_e32 v[78:79], v[6:7], v[20:21]
	v_mul_f64_e32 v[20:21], s[10:11], v[112:113]
	v_mul_f64_e32 v[22:23], s[54:55], v[126:127]
	v_add_f64_e32 v[10:11], v[0:1], v[10:11]
	v_mul_f64_e32 v[0:1], s[38:39], v[170:171]
	v_fma_f64 v[14:15], v[174:175], s[42:43], v[12:13]
	v_fma_f64 v[12:13], v[174:175], s[46:47], v[12:13]
	v_add_f64_e32 v[8:9], v[2:3], v[8:9]
	v_add_f64_e32 v[74:75], v[6:7], v[16:17]
	v_mul_f64_e32 v[16:17], s[34:35], v[96:97]
	v_add_f64_e32 v[72:73], v[6:7], v[18:19]
	v_mul_f64_e32 v[18:19], s[46:47], v[110:111]
	v_mul_f64_e32 v[170:171], s[26:27], v[142:143]
	v_fma_f64 v[2:3], v[174:175], s[44:45], v[0:1]
	v_fma_f64 v[0:1], v[174:175], s[50:51], v[0:1]
	v_add_f64_e32 v[70:71], v[6:7], v[12:13]
	v_mul_f64_e32 v[12:13], s[16:17], v[84:85]
	v_add_f64_e32 v[68:69], v[6:7], v[14:15]
	v_mul_f64_e32 v[14:15], s[52:53], v[94:95]
	v_mul_f64_e32 v[174:175], s[22:23], v[148:149]
	v_add_f64_e32 v[2:3], v[6:7], v[2:3]
	v_add_f64_e32 v[0:1], v[6:7], v[0:1]
	v_fma_f64 v[6:7], v[104:105], s[42:43], v[16:17]
	v_fma_f64 v[4:5], v[92:93], s[6:7], v[12:13]
	;; [unrolled: 1-line block ×3, first 2 shown]
	s_delay_alu instid0(VALU_DEP_2) | instskip(SKIP_1) | instid1(VALU_DEP_3)
	v_add_f64_e32 v[2:3], v[4:5], v[2:3]
	v_fma_f64 v[4:5], v[80:81], s[16:17], v[14:15]
	v_add_f64_e32 v[0:1], v[12:13], v[0:1]
	v_fma_f64 v[12:13], v[80:81], s[16:17], -v[14:15]
	v_fma_f64 v[14:15], v[104:105], s[46:47], v[16:17]
	v_add_f64_e32 v[2:3], v[6:7], v[2:3]
	v_add_f64_e32 v[4:5], v[4:5], v[56:57]
	v_fma_f64 v[6:7], v[88:89], s[34:35], v[18:19]
	v_add_f64_e32 v[12:13], v[12:13], v[46:47]
	v_add_f64_e32 v[0:1], v[14:15], v[0:1]
	v_fma_f64 v[14:15], v[88:89], s[34:35], -v[18:19]
	v_mul_f64_e32 v[56:57], s[48:49], v[160:161]
	v_mul_f64_e32 v[46:47], s[16:17], v[122:123]
	v_add_f64_e32 v[4:5], v[6:7], v[4:5]
	v_fma_f64 v[6:7], v[116:117], s[8:9], v[20:21]
	v_add_f64_e32 v[12:13], v[14:15], v[12:13]
	v_fma_f64 v[14:15], v[116:117], s[54:55], v[20:21]
	v_mul_f64_e32 v[20:21], s[48:49], v[94:95]
	s_delay_alu instid0(VALU_DEP_4) | instskip(SKIP_1) | instid1(VALU_DEP_4)
	v_add_f64_e32 v[2:3], v[6:7], v[2:3]
	v_fma_f64 v[6:7], v[100:101], s[10:11], v[22:23]
	v_add_f64_e32 v[0:1], v[14:15], v[0:1]
	v_fma_f64 v[14:15], v[100:101], s[10:11], -v[22:23]
	v_mul_f64_e32 v[22:23], s[22:23], v[96:97]
	v_fma_f64 v[16:17], v[80:81], s[18:19], v[20:21]
	v_fma_f64 v[20:21], v[80:81], s[18:19], -v[20:21]
	v_add_f64_e32 v[4:5], v[6:7], v[4:5]
	v_fma_f64 v[6:7], v[136:137], s[0:1], v[32:33]
	v_add_f64_e32 v[12:13], v[14:15], v[12:13]
	v_fma_f64 v[14:15], v[136:137], s[36:37], v[32:33]
	v_fma_f64 v[18:19], v[104:105], s[56:57], v[22:23]
	v_mul_f64_e32 v[32:33], s[24:25], v[110:111]
	v_add_f64_e32 v[16:17], v[16:17], v[58:59]
	v_fma_f64 v[22:23], v[104:105], s[24:25], v[22:23]
	v_add_f64_e32 v[20:21], v[20:21], v[48:49]
	v_mul_f64_e32 v[58:59], s[38:39], v[132:133]
	v_mul_f64_e32 v[48:49], s[22:23], v[80:81]
	v_add_f64_e32 v[2:3], v[6:7], v[2:3]
	v_fma_f64 v[6:7], v[106:107], s[30:31], v[34:35]
	v_add_f64_e32 v[0:1], v[14:15], v[0:1]
	v_fma_f64 v[14:15], v[106:107], s[30:31], -v[34:35]
	v_mul_f64_e32 v[34:35], s[30:31], v[112:113]
	v_add_f64_e64 v[48:49], v[48:49], -v[176:177]
	v_mul_f64_e32 v[176:177], s[20:21], v[146:147]
	v_add_f64_e32 v[4:5], v[6:7], v[4:5]
	v_fma_f64 v[6:7], v[152:153], s[20:21], v[44:45]
	v_add_f64_e32 v[12:13], v[14:15], v[12:13]
	v_fma_f64 v[14:15], v[152:153], s[48:49], v[44:45]
	v_mul_f64_e32 v[44:45], s[0:1], v[126:127]
	v_add_f64_e32 v[26:27], v[48:49], v[26:27]
	v_mul_f64_e32 v[48:49], s[38:39], v[88:89]
	v_add_f64_e32 v[2:3], v[6:7], v[2:3]
	v_fma_f64 v[6:7], v[118:119], s[18:19], v[56:57]
	v_add_f64_e32 v[0:1], v[14:15], v[0:1]
	v_fma_f64 v[14:15], v[118:119], s[18:19], -v[56:57]
	v_mul_f64_e32 v[56:57], s[6:7], v[146:147]
	v_add_f64_e64 v[48:49], v[48:49], -v[184:185]
	v_mul_f64_e32 v[184:185], s[0:1], v[166:167]
	v_add_f64_e32 v[4:5], v[6:7], v[4:5]
	v_fma_f64 v[6:7], v[154:155], s[40:41], v[170:171]
	v_add_f64_e32 v[12:13], v[14:15], v[12:13]
	v_fma_f64 v[14:15], v[154:155], s[28:29], v[170:171]
	v_mul_f64_e32 v[170:171], s[10:11], v[142:143]
	s_delay_alu instid0(VALU_DEP_4) | instskip(SKIP_1) | instid1(VALU_DEP_4)
	v_add_f64_e32 v[2:3], v[6:7], v[2:3]
	v_fma_f64 v[6:7], v[128:129], s[26:27], v[172:173]
	v_add_f64_e32 v[0:1], v[14:15], v[0:1]
	v_fma_f64 v[14:15], v[128:129], s[26:27], -v[172:173]
	v_mul_f64_e32 v[172:173], s[54:55], v[166:167]
	s_delay_alu instid0(VALU_DEP_4) | instskip(SKIP_1) | instid1(VALU_DEP_4)
	v_add_f64_e32 v[4:5], v[6:7], v[4:5]
	v_fma_f64 v[6:7], v[162:163], s[24:25], v[174:175]
	v_add_f64_e32 v[12:13], v[14:15], v[12:13]
	v_fma_f64 v[14:15], v[162:163], s[56:57], v[174:175]
	v_mul_f64_e32 v[174:175], s[26:27], v[148:149]
	s_delay_alu instid0(VALU_DEP_4) | instskip(SKIP_1) | instid1(VALU_DEP_4)
	v_add_f64_e32 v[6:7], v[6:7], v[2:3]
	v_mul_f64_e32 v[2:3], s[56:57], v[168:169]
	v_add_f64_e32 v[14:15], v[14:15], v[0:1]
	v_mul_f64_e32 v[0:1], s[18:19], v[84:85]
	s_delay_alu instid0(VALU_DEP_3) | instskip(SKIP_1) | instid1(VALU_DEP_2)
	v_fma_f64 v[233:234], v[138:139], s[22:23], v[2:3]
	v_fma_f64 v[2:3], v[138:139], s[22:23], -v[2:3]
	v_add_f64_e32 v[4:5], v[233:234], v[4:5]
	s_delay_alu instid0(VALU_DEP_2) | instskip(SKIP_2) | instid1(VALU_DEP_2)
	v_add_f64_e32 v[12:13], v[2:3], v[12:13]
	v_fma_f64 v[2:3], v[92:93], s[20:21], v[0:1]
	v_fma_f64 v[0:1], v[92:93], s[48:49], v[0:1]
	v_add_f64_e32 v[2:3], v[2:3], v[68:69]
	s_delay_alu instid0(VALU_DEP_2) | instskip(SKIP_2) | instid1(VALU_DEP_4)
	v_add_f64_e32 v[0:1], v[0:1], v[70:71]
	v_mul_f64_e32 v[68:69], s[50:51], v[160:161]
	v_mul_f64_e32 v[70:71], s[26:27], v[96:97]
	v_add_f64_e32 v[2:3], v[18:19], v[2:3]
	v_fma_f64 v[18:19], v[88:89], s[22:23], v[32:33]
	v_add_f64_e32 v[0:1], v[22:23], v[0:1]
	v_fma_f64 v[22:23], v[88:89], s[22:23], -v[32:33]
	v_mul_f64_e32 v[32:33], s[30:31], v[96:97]
	s_delay_alu instid0(VALU_DEP_4) | instskip(SKIP_1) | instid1(VALU_DEP_4)
	v_add_f64_e32 v[16:17], v[18:19], v[16:17]
	v_fma_f64 v[18:19], v[116:117], s[36:37], v[34:35]
	v_add_f64_e32 v[20:21], v[22:23], v[20:21]
	v_fma_f64 v[22:23], v[116:117], s[0:1], v[34:35]
	v_mul_f64_e32 v[34:35], s[22:23], v[84:85]
	v_add_f64_e32 v[32:33], v[197:198], v[32:33]
	v_mul_f64_e32 v[197:198], s[50:51], v[146:147]
	v_mul_f64_e32 v[146:147], s[56:57], v[146:147]
	v_add_f64_e32 v[2:3], v[18:19], v[2:3]
	v_fma_f64 v[18:19], v[100:101], s[30:31], v[44:45]
	v_add_f64_e32 v[0:1], v[22:23], v[0:1]
	v_fma_f64 v[22:23], v[100:101], s[30:31], -v[44:45]
	v_add_f64_e32 v[34:35], v[182:183], v[34:35]
	v_mul_f64_e32 v[44:45], s[38:39], v[100:101]
	v_mul_f64_e32 v[182:183], s[30:31], v[142:143]
	v_add_f64_e32 v[16:17], v[18:19], v[16:17]
	v_fma_f64 v[18:19], v[136:137], s[52:53], v[46:47]
	v_add_f64_e32 v[20:21], v[22:23], v[20:21]
	v_fma_f64 v[22:23], v[136:137], s[6:7], v[46:47]
	v_mul_f64_e32 v[46:47], s[30:31], v[88:89]
	v_add_f64_e32 v[24:25], v[34:35], v[24:25]
	v_add_f64_e64 v[44:45], v[44:45], -v[186:187]
	v_mul_f64_e32 v[34:35], s[26:27], v[118:119]
	v_mul_f64_e32 v[186:187], s[10:11], v[148:149]
	v_add_f64_e32 v[2:3], v[18:19], v[2:3]
	v_fma_f64 v[18:19], v[106:107], s[16:17], v[56:57]
	v_add_f64_e32 v[0:1], v[22:23], v[0:1]
	v_fma_f64 v[22:23], v[106:107], s[16:17], -v[56:57]
	v_add_f64_e64 v[46:47], v[46:47], -v[180:181]
	v_mul_f64_e32 v[56:57], s[34:35], v[106:107]
	v_add_f64_e32 v[24:25], v[32:33], v[24:25]
	v_add_f64_e64 v[34:35], v[34:35], -v[190:191]
	v_mul_f64_e32 v[32:33], s[18:19], v[142:143]
	v_mul_f64_e32 v[180:181], s[46:47], v[160:161]
	;; [unrolled: 1-line block ×3, first 2 shown]
	v_add_f64_e32 v[16:17], v[18:19], v[16:17]
	v_fma_f64 v[18:19], v[152:153], s[44:45], v[58:59]
	v_add_f64_e32 v[20:21], v[22:23], v[20:21]
	v_fma_f64 v[22:23], v[152:153], s[50:51], v[58:59]
	v_add_f64_e32 v[26:27], v[46:47], v[26:27]
	v_add_f64_e64 v[56:57], v[56:57], -v[188:189]
	v_mul_f64_e32 v[58:59], s[26:27], v[132:133]
	v_add_f64_e32 v[32:33], v[203:204], v[32:33]
	v_mul_f64_e32 v[46:47], s[26:27], v[100:101]
	v_mul_f64_e32 v[188:189], s[54:55], v[110:111]
	;; [unrolled: 1-line block ×3, first 2 shown]
	v_add_f64_e32 v[2:3], v[18:19], v[2:3]
	v_fma_f64 v[18:19], v[118:119], s[38:39], v[68:69]
	v_add_f64_e32 v[0:1], v[22:23], v[0:1]
	v_fma_f64 v[22:23], v[118:119], s[38:39], -v[68:69]
	v_mul_f64_e32 v[68:69], s[50:51], v[94:95]
	v_add_f64_e32 v[58:59], v[201:202], v[58:59]
	v_mul_f64_e32 v[201:202], s[56:57], v[160:161]
	v_add_f64_e64 v[46:47], v[46:47], -v[207:208]
	v_mul_f64_e32 v[207:208], s[30:31], v[148:149]
	v_mul_f64_e32 v[160:161], s[8:9], v[160:161]
	v_add_f64_e32 v[16:17], v[18:19], v[16:17]
	v_fma_f64 v[18:19], v[154:155], s[8:9], v[170:171]
	v_add_f64_e32 v[20:21], v[22:23], v[20:21]
	v_fma_f64 v[22:23], v[154:155], s[54:55], v[170:171]
	v_mul_f64_e32 v[170:171], s[16:17], v[112:113]
	s_delay_alu instid0(VALU_DEP_4) | instskip(SKIP_1) | instid1(VALU_DEP_4)
	v_add_f64_e32 v[2:3], v[18:19], v[2:3]
	v_fma_f64 v[18:19], v[128:129], s[10:11], v[172:173]
	v_add_f64_e32 v[0:1], v[22:23], v[0:1]
	v_fma_f64 v[22:23], v[128:129], s[10:11], -v[172:173]
	v_mul_f64_e32 v[172:173], s[52:53], v[126:127]
	s_delay_alu instid0(VALU_DEP_4) | instskip(SKIP_1) | instid1(VALU_DEP_4)
	v_add_f64_e32 v[16:17], v[18:19], v[16:17]
	v_fma_f64 v[18:19], v[162:163], s[40:41], v[174:175]
	v_add_f64_e32 v[20:21], v[22:23], v[20:21]
	v_fma_f64 v[22:23], v[162:163], s[28:29], v[174:175]
	v_mul_f64_e32 v[174:175], s[18:19], v[122:123]
	s_delay_alu instid0(VALU_DEP_4) | instskip(SKIP_1) | instid1(VALU_DEP_4)
	v_add_f64_e32 v[18:19], v[18:19], v[2:3]
	v_mul_f64_e32 v[2:3], s[28:29], v[168:169]
	v_add_f64_e32 v[22:23], v[22:23], v[0:1]
	v_mul_f64_e32 v[0:1], s[34:35], v[122:123]
	s_delay_alu instid0(VALU_DEP_3) | instskip(SKIP_1) | instid1(VALU_DEP_3)
	v_fma_f64 v[233:234], v[138:139], s[26:27], v[2:3]
	v_fma_f64 v[2:3], v[138:139], s[26:27], -v[2:3]
	v_add_f64_e32 v[0:1], v[221:222], v[0:1]
	s_delay_alu instid0(VALU_DEP_3) | instskip(NEXT) | instid1(VALU_DEP_3)
	v_add_f64_e32 v[16:17], v[233:234], v[16:17]
	v_add_f64_e32 v[20:21], v[2:3], v[20:21]
	v_mul_f64_e32 v[2:3], s[38:39], v[112:113]
	s_delay_alu instid0(VALU_DEP_1) | instskip(NEXT) | instid1(VALU_DEP_1)
	v_add_f64_e32 v[2:3], v[211:212], v[2:3]
	v_add_f64_e32 v[2:3], v[2:3], v[24:25]
	;; [unrolled: 1-line block ×3, first 2 shown]
	v_mul_f64_e32 v[26:27], s[18:19], v[128:129]
	v_mul_f64_e32 v[44:45], s[10:11], v[106:107]
	s_delay_alu instid0(VALU_DEP_4) | instskip(NEXT) | instid1(VALU_DEP_4)
	v_add_f64_e32 v[0:1], v[0:1], v[2:3]
	v_add_f64_e32 v[2:3], v[56:57], v[24:25]
	s_delay_alu instid0(VALU_DEP_4)
	v_add_f64_e64 v[26:27], v[26:27], -v[193:194]
	v_mul_f64_e32 v[24:25], s[16:17], v[148:149]
	v_mul_f64_e32 v[56:57], s[30:31], v[80:81]
	v_add_f64_e64 v[44:45], v[44:45], -v[225:226]
	v_mul_f64_e32 v[193:194], s[20:21], v[126:127]
	v_mul_f64_e32 v[126:127], s[46:47], v[126:127]
	v_add_f64_e32 v[0:1], v[58:59], v[0:1]
	v_add_f64_e32 v[2:3], v[34:35], v[2:3]
	v_mul_f64_e32 v[34:35], s[16:17], v[138:139]
	v_add_f64_e32 v[24:25], v[205:206], v[24:25]
	v_add_f64_e64 v[56:57], v[56:57], -v[178:179]
	v_mul_f64_e32 v[58:59], s[16:17], v[132:133]
	v_mul_f64_e32 v[178:179], s[34:35], v[132:133]
	;; [unrolled: 1-line block ×4, first 2 shown]
	v_add_f64_e32 v[0:1], v[32:33], v[0:1]
	v_add_f64_e32 v[2:3], v[26:27], v[2:3]
	v_add_f64_e64 v[34:35], v[34:35], -v[195:196]
	v_mul_f64_e32 v[32:33], s[38:39], v[96:97]
	v_add_f64_e32 v[30:31], v[56:57], v[30:31]
	v_add_f64_e32 v[58:59], v[229:230], v[58:59]
	v_mul_f64_e32 v[56:57], s[34:35], v[84:85]
	v_mul_f64_e32 v[195:196], s[38:39], v[122:123]
	v_add_f64_e32 v[26:27], v[24:25], v[0:1]
	v_mul_f64_e32 v[0:1], s[10:11], v[122:123]
	v_add_f64_e32 v[24:25], v[34:35], v[2:3]
	v_mul_f64_e32 v[34:35], s[30:31], v[84:85]
	v_mul_f64_e32 v[2:3], s[26:27], v[112:113]
	v_add_f64_e32 v[32:33], v[215:216], v[32:33]
	v_add_f64_e32 v[30:31], v[48:49], v[30:31]
	;; [unrolled: 1-line block ×5, first 2 shown]
	v_mul_f64_e32 v[199:200], s[22:23], v[132:133]
	s_delay_alu instid0(VALU_DEP_3) | instskip(SKIP_1) | instid1(VALU_DEP_2)
	v_add_f64_e32 v[28:29], v[34:35], v[28:29]
	v_mul_f64_e32 v[34:35], s[16:17], v[118:119]
	v_add_f64_e32 v[28:29], v[32:33], v[28:29]
	v_mul_f64_e32 v[32:33], s[22:23], v[142:143]
	s_delay_alu instid0(VALU_DEP_3) | instskip(NEXT) | instid1(VALU_DEP_3)
	v_add_f64_e64 v[34:35], v[34:35], -v[217:218]
	v_add_f64_e32 v[2:3], v[2:3], v[28:29]
	v_add_f64_e32 v[28:29], v[46:47], v[30:31]
	s_delay_alu instid0(VALU_DEP_4) | instskip(SKIP_1) | instid1(VALU_DEP_4)
	v_add_f64_e32 v[32:33], v[223:224], v[32:33]
	v_mul_f64_e32 v[30:31], s[22:23], v[128:129]
	v_add_f64_e32 v[0:1], v[0:1], v[2:3]
	s_delay_alu instid0(VALU_DEP_4) | instskip(SKIP_1) | instid1(VALU_DEP_4)
	v_add_f64_e32 v[2:3], v[44:45], v[28:29]
	v_mul_f64_e32 v[28:29], s[34:35], v[148:149]
	v_add_f64_e64 v[30:31], v[30:31], -v[213:214]
	s_delay_alu instid0(VALU_DEP_4) | instskip(NEXT) | instid1(VALU_DEP_4)
	v_add_f64_e32 v[0:1], v[58:59], v[0:1]
	v_add_f64_e32 v[2:3], v[34:35], v[2:3]
	s_delay_alu instid0(VALU_DEP_4)
	v_add_f64_e32 v[28:29], v[219:220], v[28:29]
	v_mul_f64_e32 v[34:35], s[34:35], v[138:139]
	v_mul_f64_e32 v[58:59], s[42:43], v[94:95]
	;; [unrolled: 1-line block ×3, first 2 shown]
	v_add_f64_e32 v[0:1], v[32:33], v[0:1]
	v_add_f64_e32 v[2:3], v[30:31], v[2:3]
	v_fma_f64 v[32:33], v[80:81], s[38:39], -v[68:69]
	v_add_f64_e64 v[34:35], v[34:35], -v[209:210]
	v_fma_f64 v[46:47], v[80:81], s[34:35], -v[58:59]
	v_mul_f64_e32 v[209:210], s[36:37], v[168:169]
	v_fma_f64 v[58:59], v[80:81], s[34:35], v[58:59]
	v_fma_f64 v[68:69], v[80:81], s[38:39], v[68:69]
	v_add_f64_e32 v[30:31], v[28:29], v[0:1]
	v_mul_f64_e32 v[0:1], s[38:39], v[84:85]
	v_add_f64_e32 v[32:33], v[32:33], v[54:55]
	v_add_f64_e32 v[28:29], v[34:35], v[2:3]
	v_fma_f64 v[34:35], v[104:105], s[40:41], v[70:71]
	v_add_f64_e32 v[46:47], v[46:47], v[52:53]
	v_mul_f64_e32 v[52:53], s[26:27], v[84:85]
	v_mul_f64_e32 v[54:55], s[40:41], v[94:95]
	v_add_f64_e32 v[58:59], v[58:59], v[62:63]
	v_fma_f64 v[62:63], v[138:139], s[30:31], v[209:210]
	v_fma_f64 v[70:71], v[104:105], s[28:29], v[70:71]
	v_add_f64_e32 v[64:65], v[68:69], v[64:65]
	v_fma_f64 v[2:3], v[92:93], s[50:51], v[0:1]
	v_fma_f64 v[0:1], v[92:93], s[44:45], v[0:1]
	s_delay_alu instid0(VALU_DEP_2) | instskip(SKIP_1) | instid1(VALU_DEP_3)
	v_add_f64_e32 v[2:3], v[2:3], v[158:159]
	v_mul_f64_e32 v[158:159], s[40:41], v[110:111]
	v_add_f64_e32 v[0:1], v[0:1], v[156:157]
	s_delay_alu instid0(VALU_DEP_3) | instskip(NEXT) | instid1(VALU_DEP_3)
	v_add_f64_e32 v[2:3], v[34:35], v[2:3]
	v_fma_f64 v[34:35], v[88:89], s[26:27], -v[158:159]
	s_delay_alu instid0(VALU_DEP_3) | instskip(SKIP_2) | instid1(VALU_DEP_4)
	v_add_f64_e32 v[0:1], v[70:71], v[0:1]
	v_fma_f64 v[68:69], v[88:89], s[26:27], v[158:159]
	v_mul_f64_e32 v[70:71], s[18:19], v[88:89]
	v_add_f64_e32 v[32:33], v[34:35], v[32:33]
	v_fma_f64 v[34:35], v[116:117], s[52:53], v[170:171]
	s_delay_alu instid0(VALU_DEP_4) | instskip(SKIP_2) | instid1(VALU_DEP_4)
	v_add_f64_e32 v[64:65], v[68:69], v[64:65]
	v_mul_f64_e32 v[68:69], s[22:23], v[100:101]
	v_add_f64_e64 v[70:71], v[70:71], -v[90:91]
	v_add_f64_e32 v[2:3], v[34:35], v[2:3]
	v_fma_f64 v[34:35], v[100:101], s[16:17], -v[172:173]
	s_delay_alu instid0(VALU_DEP_4) | instskip(NEXT) | instid1(VALU_DEP_2)
	v_add_f64_e64 v[68:69], v[68:69], -v[102:103]
	v_add_f64_e32 v[32:33], v[34:35], v[32:33]
	v_fma_f64 v[34:35], v[136:137], s[20:21], v[174:175]
	s_delay_alu instid0(VALU_DEP_1) | instskip(SKIP_1) | instid1(VALU_DEP_1)
	v_add_f64_e32 v[2:3], v[34:35], v[2:3]
	v_fma_f64 v[34:35], v[106:107], s[18:19], -v[176:177]
	v_add_f64_e32 v[32:33], v[34:35], v[32:33]
	v_fma_f64 v[34:35], v[152:153], s[46:47], v[178:179]
	s_delay_alu instid0(VALU_DEP_1) | instskip(SKIP_1) | instid1(VALU_DEP_1)
	v_add_f64_e32 v[2:3], v[34:35], v[2:3]
	v_fma_f64 v[34:35], v[118:119], s[34:35], -v[180:181]
	;; [unrolled: 5-line block ×3, first 2 shown]
	v_add_f64_e32 v[32:33], v[34:35], v[32:33]
	v_fma_f64 v[34:35], v[162:163], s[54:55], v[186:187]
	s_delay_alu instid0(VALU_DEP_1) | instskip(SKIP_2) | instid1(VALU_DEP_2)
	v_add_f64_e32 v[34:35], v[34:35], v[2:3]
	v_mul_f64_e32 v[2:3], s[54:55], v[168:169]
	v_mul_f64_e32 v[168:169], s[48:49], v[168:169]
	v_fma_f64 v[44:45], v[138:139], s[10:11], -v[2:3]
	v_fma_f64 v[2:3], v[138:139], s[10:11], v[2:3]
	s_delay_alu instid0(VALU_DEP_2) | instskip(SKIP_2) | instid1(VALU_DEP_2)
	v_add_f64_e32 v[32:33], v[44:45], v[32:33]
	v_fma_f64 v[44:45], v[92:93], s[42:43], v[56:57]
	v_fma_f64 v[56:57], v[92:93], s[46:47], v[56:57]
	v_add_f64_e32 v[44:45], v[44:45], v[78:79]
	v_mul_f64_e32 v[78:79], s[10:11], v[96:97]
	s_delay_alu instid0(VALU_DEP_3) | instskip(SKIP_1) | instid1(VALU_DEP_3)
	v_add_f64_e32 v[56:57], v[56:57], v[76:77]
	v_fma_f64 v[76:77], v[162:163], s[8:9], v[186:187]
	v_fma_f64 v[48:49], v[104:105], s[54:55], v[78:79]
	s_delay_alu instid0(VALU_DEP_1) | instskip(SKIP_1) | instid1(VALU_DEP_1)
	v_add_f64_e32 v[44:45], v[48:49], v[44:45]
	v_fma_f64 v[48:49], v[88:89], s[10:11], -v[188:189]
	v_add_f64_e32 v[46:47], v[48:49], v[46:47]
	v_fma_f64 v[48:49], v[116:117], s[20:21], v[190:191]
	s_delay_alu instid0(VALU_DEP_1) | instskip(SKIP_1) | instid1(VALU_DEP_1)
	v_add_f64_e32 v[44:45], v[48:49], v[44:45]
	v_fma_f64 v[48:49], v[100:101], s[18:19], -v[193:194]
	v_add_f64_e32 v[46:47], v[48:49], v[46:47]
	;; [unrolled: 5-line block ×6, first 2 shown]
	v_fma_f64 v[48:49], v[92:93], s[40:41], v[52:53]
	v_fma_f64 v[52:53], v[92:93], s[28:29], v[52:53]
	s_delay_alu instid0(VALU_DEP_2) | instskip(SKIP_2) | instid1(VALU_DEP_4)
	v_add_f64_e32 v[48:49], v[48:49], v[74:75]
	v_fma_f64 v[74:75], v[80:81], s[26:27], -v[54:55]
	v_fma_f64 v[54:55], v[80:81], s[26:27], v[54:55]
	v_add_f64_e32 v[52:53], v[52:53], v[72:73]
	v_fma_f64 v[72:73], v[138:139], s[18:19], v[168:169]
	s_delay_alu instid0(VALU_DEP_4) | instskip(SKIP_2) | instid1(VALU_DEP_2)
	v_add_f64_e32 v[50:51], v[74:75], v[50:51]
	v_mul_f64_e32 v[74:75], s[16:17], v[96:97]
	v_add_f64_e32 v[54:55], v[54:55], v[60:61]
	v_fma_f64 v[94:95], v[104:105], s[6:7], v[74:75]
	v_fma_f64 v[60:61], v[104:105], s[52:53], v[74:75]
	;; [unrolled: 1-line block ×3, first 2 shown]
	s_delay_alu instid0(VALU_DEP_3) | instskip(SKIP_1) | instid1(VALU_DEP_4)
	v_add_f64_e32 v[48:49], v[94:95], v[48:49]
	v_mul_f64_e32 v[94:95], s[6:7], v[110:111]
	v_add_f64_e32 v[52:53], v[60:61], v[52:53]
	s_delay_alu instid0(VALU_DEP_2) | instskip(SKIP_1) | instid1(VALU_DEP_2)
	v_fma_f64 v[110:111], v[88:89], s[16:17], -v[94:95]
	v_fma_f64 v[60:61], v[88:89], s[16:17], v[94:95]
	v_add_f64_e32 v[50:51], v[110:111], v[50:51]
	v_mul_f64_e32 v[110:111], s[34:35], v[112:113]
	s_delay_alu instid0(VALU_DEP_3) | instskip(NEXT) | instid1(VALU_DEP_2)
	v_add_f64_e32 v[54:55], v[60:61], v[54:55]
	v_fma_f64 v[211:212], v[116:117], s[46:47], v[110:111]
	v_fma_f64 v[60:61], v[116:117], s[42:43], v[110:111]
	s_delay_alu instid0(VALU_DEP_2) | instskip(SKIP_1) | instid1(VALU_DEP_3)
	v_add_f64_e32 v[48:49], v[211:212], v[48:49]
	v_fma_f64 v[211:212], v[100:101], s[34:35], -v[126:127]
	v_add_f64_e32 v[52:53], v[60:61], v[52:53]
	v_fma_f64 v[60:61], v[100:101], s[34:35], v[126:127]
	s_delay_alu instid0(VALU_DEP_3) | instskip(SKIP_1) | instid1(VALU_DEP_3)
	v_add_f64_e32 v[50:51], v[211:212], v[50:51]
	v_mul_f64_e32 v[211:212], s[22:23], v[122:123]
	v_add_f64_e32 v[54:55], v[60:61], v[54:55]
	s_delay_alu instid0(VALU_DEP_2) | instskip(SKIP_1) | instid1(VALU_DEP_2)
	v_fma_f64 v[213:214], v[136:137], s[56:57], v[211:212]
	v_fma_f64 v[60:61], v[136:137], s[24:25], v[211:212]
	v_add_f64_e32 v[48:49], v[213:214], v[48:49]
	v_fma_f64 v[213:214], v[106:107], s[22:23], -v[146:147]
	s_delay_alu instid0(VALU_DEP_3) | instskip(SKIP_1) | instid1(VALU_DEP_3)
	v_add_f64_e32 v[52:53], v[60:61], v[52:53]
	v_fma_f64 v[60:61], v[106:107], s[22:23], v[146:147]
	v_add_f64_e32 v[50:51], v[213:214], v[50:51]
	v_mul_f64_e32 v[213:214], s[10:11], v[132:133]
	s_delay_alu instid0(VALU_DEP_3) | instskip(NEXT) | instid1(VALU_DEP_2)
	v_add_f64_e32 v[54:55], v[60:61], v[54:55]
	v_fma_f64 v[215:216], v[152:153], s[8:9], v[213:214]
	v_fma_f64 v[60:61], v[152:153], s[54:55], v[213:214]
	s_delay_alu instid0(VALU_DEP_2) | instskip(SKIP_1) | instid1(VALU_DEP_3)
	v_add_f64_e32 v[48:49], v[215:216], v[48:49]
	v_fma_f64 v[215:216], v[118:119], s[10:11], -v[160:161]
	v_add_f64_e32 v[52:53], v[60:61], v[52:53]
	v_fma_f64 v[60:61], v[118:119], s[10:11], v[160:161]
	s_delay_alu instid0(VALU_DEP_3) | instskip(SKIP_1) | instid1(VALU_DEP_3)
	v_add_f64_e32 v[50:51], v[215:216], v[50:51]
	v_mul_f64_e32 v[215:216], s[38:39], v[142:143]
	v_add_f64_e32 v[54:55], v[60:61], v[54:55]
	s_delay_alu instid0(VALU_DEP_2) | instskip(SKIP_1) | instid1(VALU_DEP_2)
	v_fma_f64 v[60:61], v[154:155], s[44:45], v[215:216]
	v_fma_f64 v[217:218], v[154:155], s[50:51], v[215:216]
	v_add_f64_e32 v[52:53], v[60:61], v[52:53]
	v_fma_f64 v[60:61], v[128:129], s[38:39], v[166:167]
	s_delay_alu instid0(VALU_DEP_3) | instskip(SKIP_1) | instid1(VALU_DEP_3)
	v_add_f64_e32 v[48:49], v[217:218], v[48:49]
	v_fma_f64 v[217:218], v[128:129], s[38:39], -v[166:167]
	v_add_f64_e32 v[60:61], v[60:61], v[54:55]
	v_fma_f64 v[54:55], v[162:163], s[20:21], v[219:220]
	s_delay_alu instid0(VALU_DEP_3) | instskip(SKIP_1) | instid1(VALU_DEP_3)
	v_add_f64_e32 v[217:218], v[217:218], v[50:51]
	v_fma_f64 v[50:51], v[162:163], s[48:49], v[219:220]
	v_add_f64_e32 v[54:55], v[54:55], v[52:53]
	v_add_f64_e32 v[52:53], v[72:73], v[60:61]
	v_fma_f64 v[60:61], v[104:105], s[8:9], v[78:79]
	v_fma_f64 v[72:73], v[152:153], s[42:43], v[178:179]
	v_add_f64_e32 v[50:51], v[50:51], v[48:49]
	v_fma_f64 v[48:49], v[138:139], s[18:19], -v[168:169]
	s_delay_alu instid0(VALU_DEP_4) | instskip(SKIP_1) | instid1(VALU_DEP_3)
	v_add_f64_e32 v[56:57], v[60:61], v[56:57]
	v_fma_f64 v[60:61], v[88:89], s[10:11], v[188:189]
	v_add_f64_e32 v[48:49], v[48:49], v[217:218]
	s_delay_alu instid0(VALU_DEP_2) | instskip(SKIP_1) | instid1(VALU_DEP_1)
	v_add_f64_e32 v[58:59], v[60:61], v[58:59]
	v_fma_f64 v[60:61], v[116:117], s[48:49], v[190:191]
	v_add_f64_e32 v[56:57], v[60:61], v[56:57]
	v_fma_f64 v[60:61], v[100:101], s[18:19], v[193:194]
	s_delay_alu instid0(VALU_DEP_1) | instskip(SKIP_1) | instid1(VALU_DEP_1)
	v_add_f64_e32 v[58:59], v[60:61], v[58:59]
	v_fma_f64 v[60:61], v[136:137], s[44:45], v[195:196]
	v_add_f64_e32 v[56:57], v[60:61], v[56:57]
	v_fma_f64 v[60:61], v[106:107], s[38:39], v[197:198]
	s_delay_alu instid0(VALU_DEP_1) | instskip(SKIP_1) | instid1(VALU_DEP_1)
	;; [unrolled: 5-line block ×4, first 2 shown]
	v_add_f64_e32 v[60:61], v[60:61], v[58:59]
	v_fma_f64 v[58:59], v[162:163], s[0:1], v[207:208]
	v_add_f64_e32 v[58:59], v[58:59], v[56:57]
	s_delay_alu instid0(VALU_DEP_3) | instskip(SKIP_2) | instid1(VALU_DEP_2)
	v_add_f64_e32 v[56:57], v[62:63], v[60:61]
	v_fma_f64 v[62:63], v[116:117], s[6:7], v[170:171]
	v_fma_f64 v[60:61], v[136:137], s[48:49], v[174:175]
	v_add_f64_e32 v[0:1], v[62:63], v[0:1]
	v_fma_f64 v[62:63], v[100:101], s[16:17], v[172:173]
	s_delay_alu instid0(VALU_DEP_2) | instskip(NEXT) | instid1(VALU_DEP_2)
	v_add_f64_e32 v[0:1], v[60:61], v[0:1]
	v_add_f64_e32 v[62:63], v[62:63], v[64:65]
	v_fma_f64 v[60:61], v[106:107], s[18:19], v[176:177]
	v_mul_f64_e32 v[64:65], s[10:11], v[84:85]
	s_delay_alu instid0(VALU_DEP_4) | instskip(SKIP_1) | instid1(VALU_DEP_4)
	v_add_f64_e32 v[0:1], v[72:73], v[0:1]
	v_mul_f64_e32 v[72:73], s[10:11], v[80:81]
	v_add_f64_e32 v[60:61], v[60:61], v[62:63]
	v_fma_f64 v[62:63], v[118:119], s[34:35], v[180:181]
	v_add_f64_e32 v[64:65], v[86:87], v[64:65]
	v_add_f64_e32 v[0:1], v[74:75], v[0:1]
	v_add_f64_e64 v[72:73], v[72:73], -v[82:83]
	v_mul_f64_e32 v[74:75], s[26:27], v[122:123]
	v_add_f64_e32 v[60:61], v[62:63], v[60:61]
	v_fma_f64 v[62:63], v[128:129], s[30:31], v[184:185]
	v_add_f64_e32 v[64:65], v[64:65], v[164:165]
	v_add_f64_e32 v[66:67], v[72:73], v[66:67]
	;; [unrolled: 1-line block ×3, first 2 shown]
	v_mul_f64_e32 v[72:73], s[30:31], v[132:133]
	v_add_f64_e32 v[60:61], v[62:63], v[60:61]
	v_add_f64_e32 v[62:63], v[76:77], v[0:1]
	v_mul_f64_e32 v[0:1], s[22:23], v[112:113]
	v_mul_f64_e32 v[76:77], s[26:27], v[106:107]
	v_add_f64_e32 v[72:73], v[134:135], v[72:73]
	v_add_f64_e32 v[60:61], v[2:3], v[60:61]
	v_mul_f64_e32 v[2:3], s[18:19], v[96:97]
	v_add_f64_e32 v[0:1], v[114:115], v[0:1]
	v_add_f64_e64 v[76:77], v[76:77], -v[108:109]
	s_delay_alu instid0(VALU_DEP_3) | instskip(NEXT) | instid1(VALU_DEP_1)
	v_add_f64_e32 v[2:3], v[98:99], v[2:3]
	v_add_f64_e32 v[2:3], v[2:3], v[64:65]
	;; [unrolled: 1-line block ×3, first 2 shown]
	v_mul_f64_e32 v[66:67], s[30:31], v[118:119]
	s_delay_alu instid0(VALU_DEP_3) | instskip(NEXT) | instid1(VALU_DEP_3)
	v_add_f64_e32 v[0:1], v[0:1], v[2:3]
	v_add_f64_e32 v[2:3], v[68:69], v[64:65]
	v_mul_f64_e32 v[64:65], s[34:35], v[142:143]
	s_delay_alu instid0(VALU_DEP_4) | instskip(SKIP_4) | instid1(VALU_DEP_4)
	v_add_f64_e64 v[66:67], v[66:67], -v[120:121]
	v_mul_f64_e32 v[68:69], s[34:35], v[128:129]
	v_add_f64_e32 v[0:1], v[74:75], v[0:1]
	v_add_f64_e32 v[2:3], v[76:77], v[2:3]
	;; [unrolled: 1-line block ×3, first 2 shown]
	v_add_f64_e64 v[68:69], v[68:69], -v[130:131]
	s_delay_alu instid0(VALU_DEP_4) | instskip(NEXT) | instid1(VALU_DEP_4)
	v_add_f64_e32 v[0:1], v[72:73], v[0:1]
	v_add_f64_e32 v[2:3], v[66:67], v[2:3]
	v_mul_f64_e32 v[66:67], s[38:39], v[148:149]
	s_delay_alu instid0(VALU_DEP_3) | instskip(SKIP_1) | instid1(VALU_DEP_3)
	v_add_f64_e32 v[0:1], v[64:65], v[0:1]
	v_mul_f64_e32 v[64:65], s[38:39], v[138:139]
	v_add_f64_e32 v[66:67], v[150:151], v[66:67]
	v_add_f64_e32 v[2:3], v[68:69], v[2:3]
	s_delay_alu instid0(VALU_DEP_3) | instskip(NEXT) | instid1(VALU_DEP_3)
	v_add_f64_e64 v[64:65], v[64:65], -v[140:141]
	v_add_f64_e32 v[66:67], v[66:67], v[0:1]
	v_mul_lo_u16 v0, v243, 17
	s_delay_alu instid0(VALU_DEP_1) | instskip(NEXT) | instid1(VALU_DEP_1)
	v_and_b32_e32 v0, 0xffff, v0
	v_add_lshl_u32 v0, v241, v0, 4
	v_add_f64_e32 v[64:65], v[64:65], v[2:3]
	ds_store_b128 v0, v[24:27] offset:32
	ds_store_b128 v0, v[28:31] offset:48
	;; [unrolled: 1-line block ×15, first 2 shown]
	ds_store_b128 v0, v[8:11]
	ds_store_b128 v0, v[245:248] offset:256
.LBB0_7:
	s_or_b32 exec_lo, exec_lo, s33
	v_add_lshl_u32 v254, v241, v243, 4
	global_wb scope:SCOPE_SE
	s_wait_dscnt 0x0
	s_barrier_signal -1
	s_barrier_wait -1
	global_inv scope:SCOPE_SE
	ds_load_b128 v[44:47], v254
	ds_load_b128 v[48:51], v254 offset:544
	ds_load_b128 v[72:75], v254 offset:4624
	;; [unrolled: 1-line block ×13, first 2 shown]
	v_cmp_gt_u16_e64 s0, 17, v243
	s_delay_alu instid0(VALU_DEP_1)
	s_and_saveexec_b32 s1, s0
	s_cbranch_execz .LBB0_9
; %bb.8:
	ds_load_b128 v[36:39], v254 offset:3808
	ds_load_b128 v[40:43], v254 offset:7888
.LBB0_9:
	s_wait_alu 0xfffe
	s_or_b32 exec_lo, exec_lo, s1
	v_add_co_u32 v100, s1, v243, 34
	s_wait_alu 0xf1ff
	v_add_co_ci_u32_e64 v101, null, 0, 0, s1
	v_add_co_u32 v102, s1, 0x44, v243
	s_delay_alu instid0(VALU_DEP_3) | instskip(SKIP_3) | instid1(VALU_DEP_3)
	v_and_b32_e32 v0, 0xff, v100
	s_wait_alu 0xf1ff
	v_add_co_ci_u32_e64 v103, null, 0, 0, s1
	v_add_co_u32 v2, s1, 0xffffffef, v243
	v_mul_lo_u16 v0, 0xf1, v0
	s_wait_alu 0xf1ff
	v_add_co_ci_u32_e64 v1, null, 0, -1, s1
	v_add_nc_u16 v104, v243, 0x66
	v_and_b32_e32 v6, 0xff, v102
	v_lshrrev_b16 v15, 12, v0
	s_delay_alu instid0(VALU_DEP_4)
	v_cndmask_b32_e64 v1, v1, 0, s0
	v_cndmask_b32_e64 v0, v2, v243, s0
	v_add_nc_u16 v105, v243, 0x88
	v_add_nc_u16 v3, v243, 0xaa
	v_mul_lo_u16 v5, v15, 17
	v_and_b32_e32 v7, 0xff, v104
	v_lshlrev_b64_e32 v[1:2], 4, v[0:1]
	v_mul_lo_u16 v108, 0xf1, v6
	v_add_nc_u16 v4, v243, 0xcc
	v_sub_nc_u16 v16, v100, v5
	v_and_b32_e32 v8, 0xff, v105
	v_and_b32_e32 v5, 0xff, v3
	v_add_co_u32 v1, s1, s2, v1
	s_delay_alu instid0(VALU_DEP_4)
	v_and_b32_e32 v6, 0xff, v16
	s_wait_alu 0xf1ff
	v_add_co_ci_u32_e64 v2, s1, s3, v2, s1
	v_mul_lo_u16 v107, 0xf1, v7
	v_and_b32_e32 v9, 0xff, v4
	v_lshlrev_b32_e32 v6, 4, v6
	v_mul_lo_u16 v106, 0xf1, v8
	v_lshrrev_b16 v17, 12, v108
	s_clause 0x1
	global_load_b128 v[123:126], v[1:2], off
	global_load_b128 v[32:35], v6, s[2:3]
	v_mul_lo_u16 v1, 0xf1, v5
	v_lshrrev_b16 v18, 12, v107
	v_mul_lo_u16 v2, 0xf1, v9
	v_lshrrev_b16 v19, 12, v106
	;; [unrolled: 2-line block ×4, first 2 shown]
	v_mul_lo_u16 v2, v19, 17
	v_sub_nc_u16 v5, v102, v5
	v_mul_lo_u16 v6, v20, 17
	v_sub_nc_u16 v1, v104, v1
	;; [unrolled: 2-line block ×3, first 2 shown]
	v_and_b32_e32 v22, 0xff, v5
	v_sub_nc_u16 v3, v3, v6
	v_and_b32_e32 v23, 0xff, v1
	v_sub_nc_u16 v1, v4, v7
	v_and_b32_e32 v24, 0xff, v2
	v_lshlrev_b32_e32 v2, 4, v22
	v_and_b32_e32 v25, 0xff, v3
	v_lshlrev_b32_e32 v3, 4, v23
	;; [unrolled: 2-line block ×3, first 2 shown]
	global_load_b128 v[131:134], v2, s[2:3]
	v_cmp_lt_u16_e64 s1, 16, v243
	global_load_b128 v[135:138], v3, s[2:3]
	v_lshlrev_b32_e32 v2, 4, v25
	v_lshlrev_b32_e32 v3, 4, v26
	s_clause 0x1
	global_load_b128 v[139:142], v1, s[2:3]
	global_load_b128 v[127:130], v2, s[2:3]
	v_add_nc_u32_e32 v1, 0xee, v243
	global_load_b128 v[143:146], v3, s[2:3]
	s_load_b128 s[4:7], s[4:5], 0x0
	v_and_b32_e32 v2, 0xffff, v1
	s_delay_alu instid0(VALU_DEP_1) | instskip(NEXT) | instid1(VALU_DEP_1)
	v_mul_u32_u24_e32 v2, 0xf0f1, v2
	v_lshrrev_b32_e32 v2, 20, v2
	s_delay_alu instid0(VALU_DEP_1) | instskip(NEXT) | instid1(VALU_DEP_1)
	v_mul_lo_u16 v2, v2, 17
	v_sub_nc_u16 v1, v1, v2
	s_delay_alu instid0(VALU_DEP_1)
	v_and_b32_e32 v1, 0xffff, v1
	scratch_store_b32 off, v1, off          ; 4-byte Folded Spill
	v_lshlrev_b32_e32 v1, 4, v1
	global_load_b128 v[27:30], v1, s[2:3]
	s_wait_loadcnt 0x7
	scratch_store_b128 off, v[123:126], off offset:4 ; 16-byte Folded Spill
	s_wait_dscnt 0x3
	v_mul_f64_e32 v[1:2], v[98:99], v[125:126]
	v_mul_f64_e32 v[3:4], v[96:97], v[125:126]
	s_wait_loadcnt 0x6
	v_mul_f64_e32 v[5:6], v[74:75], v[34:35]
	v_mul_f64_e32 v[7:8], v[72:73], v[34:35]
	s_wait_loadcnt 0x5
	;; [unrolled: 3-line block ×3, first 2 shown]
	v_mul_f64_e32 v[13:14], v[82:83], v[137:138]
	v_mul_f64_e32 v[109:110], v[80:81], v[137:138]
	s_clause 0x1
	scratch_store_b128 off, v[131:134], off offset:36
	scratch_store_b128 off, v[135:138], off offset:52
	s_wait_loadcnt 0x3
	scratch_store_b128 off, v[139:142], off offset:68 ; 16-byte Folded Spill
	s_wait_loadcnt_dscnt 0x201
	v_mul_f64_e32 v[115:116], v[94:95], v[129:130]
	v_mul_f64_e32 v[117:118], v[92:93], v[129:130]
	;; [unrolled: 1-line block ×4, first 2 shown]
	s_wait_loadcnt_dscnt 0x100
	v_mul_f64_e32 v[119:120], v[90:91], v[145:146]
	v_mul_f64_e32 v[121:122], v[88:89], v[145:146]
	v_fma_f64 v[1:2], v[96:97], v[123:124], -v[1:2]
	v_fma_f64 v[3:4], v[98:99], v[123:124], v[3:4]
	v_fma_f64 v[5:6], v[72:73], v[32:33], -v[5:6]
	v_fma_f64 v[7:8], v[74:75], v[32:33], v[7:8]
	s_clause 0x1
	scratch_store_b128 off, v[127:130], off offset:20
	scratch_store_b128 off, v[143:146], off offset:84
	v_fma_f64 v[9:10], v[76:77], v[131:132], -v[9:10]
	v_fma_f64 v[11:12], v[78:79], v[131:132], v[11:12]
	v_fma_f64 v[13:14], v[80:81], v[135:136], -v[13:14]
	v_fma_f64 v[96:97], v[82:83], v[135:136], v[109:110]
	;; [unrolled: 2-line block ×4, first 2 shown]
	s_wait_loadcnt 0x0
	scratch_store_b128 off, v[27:30], off offset:400 ; 16-byte Folded Spill
	v_mul_f64_e32 v[115:116], v[42:43], v[29:30]
	v_mul_f64_e32 v[117:118], v[40:41], v[29:30]
	v_fma_f64 v[111:112], v[88:89], v[143:144], -v[119:120]
	v_fma_f64 v[113:114], v[90:91], v[143:144], v[121:122]
	v_add_f64_e64 v[72:73], v[44:45], -v[1:2]
	v_add_f64_e64 v[74:75], v[46:47], -v[3:4]
	;; [unrolled: 1-line block ×4, first 2 shown]
	v_cndmask_b32_e64 v5, 0, 34, s1
	v_and_b32_e32 v6, 0xffff, v19
	v_and_b32_e32 v7, 0xffff, v20
	global_wb scope:SCOPE_SE
	s_wait_storecnt 0x0
	s_wait_kmcnt 0x0
	s_barrier_signal -1
	v_add_nc_u32_e32 v0, v0, v5
	v_and_b32_e32 v5, 0xffff, v18
	s_barrier_wait -1
	global_inv scope:SCOPE_SE
	v_add_lshl_u32 v8, v241, v0, 4
	v_and_b32_e32 v0, 0xffff, v17
	scratch_store_b32 off, v8, off offset:100 ; 4-byte Folded Spill
	v_mul_u32_u24_e32 v0, 34, v0
	v_add_f64_e64 v[80:81], v[56:57], -v[9:10]
	v_add_f64_e64 v[82:83], v[58:59], -v[11:12]
	;; [unrolled: 1-line block ×4, first 2 shown]
	v_add_nc_u32_e32 v0, v0, v22
	v_add_f64_e64 v[92:93], v[60:61], -v[92:93]
	v_add_f64_e64 v[94:95], v[62:63], -v[94:95]
	v_add_f64_e64 v[88:89], v[64:65], -v[98:99]
	v_add_f64_e64 v[90:91], v[66:67], -v[109:110]
	v_fma_f64 v[1:2], v[40:41], v[27:28], -v[115:116]
	v_fma_f64 v[3:4], v[42:43], v[27:28], v[117:118]
	v_add_f64_e64 v[96:97], v[68:69], -v[111:112]
	v_add_f64_e64 v[98:99], v[70:71], -v[113:114]
	v_fma_f64 v[40:41], v[44:45], 2.0, -v[72:73]
	v_fma_f64 v[42:43], v[46:47], 2.0, -v[74:75]
	v_fma_f64 v[44:45], v[48:49], 2.0, -v[76:77]
	v_fma_f64 v[46:47], v[50:51], 2.0, -v[78:79]
	v_fma_f64 v[48:49], v[56:57], 2.0, -v[80:81]
	v_fma_f64 v[50:51], v[58:59], 2.0, -v[82:83]
	v_fma_f64 v[52:53], v[52:53], 2.0, -v[84:85]
	v_fma_f64 v[54:55], v[54:55], 2.0, -v[86:87]
	v_fma_f64 v[60:61], v[60:61], 2.0, -v[92:93]
	v_fma_f64 v[62:63], v[62:63], 2.0, -v[94:95]
	v_fma_f64 v[56:57], v[64:65], 2.0, -v[88:89]
	v_fma_f64 v[58:59], v[66:67], 2.0, -v[90:91]
	v_add_f64_e64 v[116:117], v[36:37], -v[1:2]
	v_add_f64_e64 v[118:119], v[38:39], -v[3:4]
	v_fma_f64 v[64:65], v[68:69], 2.0, -v[96:97]
	v_fma_f64 v[66:67], v[70:71], 2.0, -v[98:99]
	v_and_b32_e32 v1, 0xffff, v21
	v_mad_u16 v2, v15, 34, v16
	v_mul_u32_u24_e32 v3, 34, v5
	v_mul_u32_u24_e32 v4, 34, v6
	;; [unrolled: 1-line block ×4, first 2 shown]
	v_and_b32_e32 v2, 0xff, v2
	v_add_nc_u32_e32 v3, v3, v23
	v_add_nc_u32_e32 v4, v4, v24
	;; [unrolled: 1-line block ×4, first 2 shown]
	v_add_lshl_u32 v9, v241, v2, 4
	v_add_lshl_u32 v7, v241, v0, 4
	v_add_lshl_u32 v6, v241, v3, 4
	v_add_lshl_u32 v3, v241, v4, 4
	v_add_lshl_u32 v2, v241, v5, 4
	v_add_lshl_u32 v0, v241, v1, 4
	ds_store_b128 v8, v[40:43]
	ds_store_b128 v8, v[72:75] offset:272
	ds_store_b128 v9, v[44:47]
	scratch_store_b32 off, v9, off offset:124 ; 4-byte Folded Spill
	ds_store_b128 v9, v[76:79] offset:272
	ds_store_b128 v7, v[48:51]
	scratch_store_b32 off, v7, off offset:120 ; 4-byte Folded Spill
	;; [unrolled: 3-line block ×6, first 2 shown]
	ds_store_b128 v0, v[96:99] offset:272
	s_mov_b32 s1, exec_lo
	v_dual_mov_b32 v18, v245 :: v_dual_mov_b32 v19, v246
	v_dual_mov_b32 v20, v247 :: v_dual_mov_b32 v21, v248
	s_wait_alu 0xfffe
	s_and_b32 s8, s1, s0
	s_wait_alu 0xfffe
	s_mov_b32 exec_lo, s8
	s_cbranch_execz .LBB0_11
; %bb.10:
	scratch_load_b32 v0, off, off           ; 4-byte Folded Reload
	v_fma_f64 v[38:39], v[38:39], 2.0, -v[118:119]
	v_fma_f64 v[36:37], v[36:37], 2.0, -v[116:117]
	s_wait_loadcnt 0x0
	v_add_lshl_u32 v0, v241, v0, 4
	ds_store_b128 v0, v[36:39] offset:7616
	ds_store_b128 v0, v[116:119] offset:7888
.LBB0_11:
	s_or_b32 exec_lo, exec_lo, s1
	v_lshlrev_b32_e32 v0, 5, v243
	global_wb scope:SCOPE_SE
	s_wait_storecnt_dscnt 0x0
	s_barrier_signal -1
	s_barrier_wait -1
	global_inv scope:SCOPE_SE
	s_clause 0x1
	global_load_b128 v[40:43], v0, s[2:3] offset:272
	global_load_b128 v[36:39], v0, s[2:3] offset:288
	v_lshrrev_b16 v16, 13, v108
	ds_load_b128 v[44:47], v254 offset:2720
	ds_load_b128 v[48:51], v254 offset:5440
	s_mov_b32 s8, 0xe8584caa
	s_mov_b32 s9, 0x3febb67a
	;; [unrolled: 1-line block ×3, first 2 shown]
	v_mul_lo_u16 v16, v16, 34
	s_wait_alu 0xfffe
	s_mov_b32 s10, s8
	ds_load_b128 v[95:98], v254 offset:1088
	ds_load_b128 v[128:131], v254 offset:2176
	s_mov_b32 s17, 0xbfee6f0e
	v_sub_nc_u16 v16, v102, v16
	s_mov_b32 s18, 0x372fe950
	s_mov_b32 s19, 0x3fd3c6ef
	v_lshl_add_u32 v253, v243, 4, v244
	ds_load_b128 v[83:86], v254 offset:544
	v_and_b32_e32 v68, 0xff, v16
	s_delay_alu instid0(VALU_DEP_1)
	v_lshlrev_b32_e32 v16, 5, v68
	global_load_b128 v[22:25], v16, s[2:3] offset:272
	s_wait_loadcnt_dscnt 0x204
	v_mul_f64_e32 v[0:1], v[46:47], v[42:43]
	v_mul_f64_e32 v[2:3], v[44:45], v[42:43]
	s_wait_loadcnt_dscnt 0x103
	v_mul_f64_e32 v[4:5], v[50:51], v[38:39]
	v_mul_f64_e32 v[6:7], v[48:49], v[38:39]
	s_wait_loadcnt 0x0
	scratch_store_b128 off, v[22:25], off offset:128 ; 16-byte Folded Spill
	v_fma_f64 v[0:1], v[44:45], v[40:41], -v[0:1]
	v_fma_f64 v[2:3], v[46:47], v[40:41], v[2:3]
	ds_load_b128 v[44:47], v254 offset:3264
	v_fma_f64 v[4:5], v[48:49], v[36:37], -v[4:5]
	v_fma_f64 v[6:7], v[50:51], v[36:37], v[6:7]
	ds_load_b128 v[48:51], v254 offset:3808
	s_wait_dscnt 0x1
	v_mul_f64_e32 v[8:9], v[46:47], v[42:43]
	v_mul_f64_e32 v[10:11], v[44:45], v[42:43]
	s_wait_dscnt 0x0
	v_mul_f64_e32 v[52:53], v[50:51], v[24:25]
	s_delay_alu instid0(VALU_DEP_3) | instskip(NEXT) | instid1(VALU_DEP_3)
	v_fma_f64 v[8:9], v[44:45], v[40:41], -v[8:9]
	v_fma_f64 v[10:11], v[46:47], v[40:41], v[10:11]
	ds_load_b128 v[44:47], v254 offset:5984
	v_fma_f64 v[108:109], v[48:49], v[22:23], -v[52:53]
	v_mul_f64_e32 v[48:49], v[48:49], v[24:25]
	ds_load_b128 v[52:55], v254 offset:6528
	v_fma_f64 v[110:111], v[50:51], v[22:23], v[48:49]
	global_load_b128 v[22:25], v16, s[2:3] offset:288
	v_lshrrev_b16 v16, 13, v107
	s_delay_alu instid0(VALU_DEP_1) | instskip(NEXT) | instid1(VALU_DEP_1)
	v_mul_lo_u16 v16, v16, 34
	v_sub_nc_u16 v16, v104, v16
	s_delay_alu instid0(VALU_DEP_1) | instskip(NEXT) | instid1(VALU_DEP_1)
	v_and_b32_e32 v69, 0xff, v16
	v_lshlrev_b32_e32 v16, 5, v69
	s_wait_loadcnt_dscnt 0x0
	v_mul_f64_e32 v[56:57], v[54:55], v[24:25]
	scratch_store_b128 off, v[22:25], off offset:144 ; 16-byte Folded Spill
	v_fma_f64 v[112:113], v[52:53], v[22:23], -v[56:57]
	ds_load_b128 v[56:59], v254 offset:4352
	v_mul_f64_e32 v[52:53], v[52:53], v[24:25]
	v_mul_f64_e32 v[12:13], v[46:47], v[38:39]
	;; [unrolled: 1-line block ×3, first 2 shown]
	s_delay_alu instid0(VALU_DEP_3)
	v_fma_f64 v[114:115], v[54:55], v[22:23], v[52:53]
	global_load_b128 v[22:25], v16, s[2:3] offset:272
	v_fma_f64 v[12:13], v[44:45], v[36:37], -v[12:13]
	v_fma_f64 v[14:15], v[46:47], v[36:37], v[14:15]
	s_wait_loadcnt_dscnt 0x0
	v_mul_f64_e32 v[60:61], v[58:59], v[24:25]
	scratch_store_b128 off, v[22:25], off offset:160 ; 16-byte Folded Spill
	v_fma_f64 v[120:121], v[56:57], v[22:23], -v[60:61]
	v_mul_f64_e32 v[56:57], v[56:57], v[24:25]
	ds_load_b128 v[60:63], v254 offset:7072
	v_fma_f64 v[122:123], v[58:59], v[22:23], v[56:57]
	global_load_b128 v[22:25], v16, s[2:3] offset:288
	v_lshrrev_b16 v16, 13, v106
	s_delay_alu instid0(VALU_DEP_1) | instskip(NEXT) | instid1(VALU_DEP_1)
	v_mul_lo_u16 v16, v16, 34
	v_sub_nc_u16 v16, v105, v16
	s_delay_alu instid0(VALU_DEP_1) | instskip(NEXT) | instid1(VALU_DEP_1)
	v_and_b32_e32 v70, 0xff, v16
	v_lshlrev_b32_e32 v16, 5, v70
	s_wait_loadcnt_dscnt 0x0
	v_mul_f64_e32 v[64:65], v[62:63], v[24:25]
	scratch_store_b128 off, v[22:25], off offset:176 ; 16-byte Folded Spill
	v_fma_f64 v[124:125], v[60:61], v[22:23], -v[64:65]
	v_mul_f64_e32 v[60:61], v[60:61], v[24:25]
	ds_load_b128 v[64:67], v254 offset:4896
	v_fma_f64 v[126:127], v[62:63], v[22:23], v[60:61]
	global_load_b128 v[22:25], v16, s[2:3] offset:272
	s_wait_loadcnt_dscnt 0x0
	v_mul_f64_e32 v[71:72], v[66:67], v[24:25]
	scratch_store_b128 off, v[22:25], off offset:192 ; 16-byte Folded Spill
	v_fma_f64 v[132:133], v[64:65], v[22:23], -v[71:72]
	v_mul_f64_e32 v[64:65], v[64:65], v[24:25]
	ds_load_b128 v[71:74], v254 offset:7616
	v_fma_f64 v[134:135], v[66:67], v[22:23], v[64:65]
	global_load_b128 v[22:25], v16, s[2:3] offset:288
	s_wait_loadcnt_dscnt 0x0
	v_mul_f64_e32 v[75:76], v[73:74], v[24:25]
	scratch_store_b128 off, v[22:25], off offset:208 ; 16-byte Folded Spill
	v_fma_f64 v[136:137], v[71:72], v[22:23], -v[75:76]
	v_mul_f64_e32 v[71:72], v[71:72], v[24:25]
	v_add_f64_e32 v[75:76], v[0:1], v[4:5]
	s_delay_alu instid0(VALU_DEP_2)
	v_fma_f64 v[138:139], v[73:74], v[22:23], v[71:72]
	ds_load_b128 v[71:74], v254
	s_wait_dscnt 0x0
	v_fma_f64 v[77:78], v[75:76], -0.5, v[71:72]
	v_add_f64_e32 v[75:76], v[2:3], v[6:7]
	v_add_f64_e32 v[71:72], v[71:72], v[0:1]
	v_add_f64_e64 v[0:1], v[0:1], -v[4:5]
	s_delay_alu instid0(VALU_DEP_3) | instskip(SKIP_4) | instid1(VALU_DEP_4)
	v_fma_f64 v[81:82], v[75:76], -0.5, v[73:74]
	v_add_f64_e32 v[73:74], v[73:74], v[2:3]
	v_add_f64_e64 v[2:3], v[2:3], -v[6:7]
	v_add_f64_e32 v[71:72], v[71:72], v[4:5]
	v_add_f64_e32 v[4:5], v[85:86], v[10:11]
	;; [unrolled: 1-line block ×3, first 2 shown]
	s_delay_alu instid0(VALU_DEP_4)
	v_fma_f64 v[75:76], v[2:3], s[8:9], v[77:78]
	s_wait_alu 0xfffe
	v_fma_f64 v[79:80], v[2:3], s[10:11], v[77:78]
	v_fma_f64 v[77:78], v[0:1], s[10:11], v[81:82]
	;; [unrolled: 1-line block ×3, first 2 shown]
	v_add_f64_e32 v[0:1], v[8:9], v[12:13]
	v_add_f64_e32 v[2:3], v[10:11], v[14:15]
	v_add_f64_e64 v[10:11], v[10:11], -v[14:15]
	v_add_f64_e32 v[6:7], v[83:84], v[8:9]
	s_delay_alu instid0(VALU_DEP_4) | instskip(NEXT) | instid1(VALU_DEP_4)
	v_fma_f64 v[0:1], v[0:1], -0.5, v[83:84]
	v_fma_f64 v[2:3], v[2:3], -0.5, v[85:86]
	v_add_f64_e32 v[85:86], v[4:5], v[14:15]
	v_add_f64_e64 v[4:5], v[8:9], -v[12:13]
	v_add_f64_e32 v[83:84], v[6:7], v[12:13]
	v_add_f64_e32 v[6:7], v[95:96], v[108:109]
	v_add_f64_e64 v[8:9], v[110:111], -v[114:115]
	v_lshlrev_b32_e32 v12, 6, v243
	v_fma_f64 v[87:88], v[10:11], s[8:9], v[0:1]
	v_fma_f64 v[91:92], v[10:11], s[10:11], v[0:1]
	v_add_f64_e32 v[0:1], v[108:109], v[112:113]
	v_fma_f64 v[89:90], v[4:5], s[10:11], v[2:3]
	v_fma_f64 v[93:94], v[4:5], s[8:9], v[2:3]
	v_add_f64_e32 v[2:3], v[110:111], v[114:115]
	v_add_f64_e32 v[4:5], v[97:98], v[110:111]
	v_fma_f64 v[0:1], v[0:1], -0.5, v[95:96]
	v_add_f64_e32 v[95:96], v[6:7], v[112:113]
	s_delay_alu instid0(VALU_DEP_4) | instskip(NEXT) | instid1(VALU_DEP_4)
	v_fma_f64 v[2:3], v[2:3], -0.5, v[97:98]
	v_add_f64_e32 v[97:98], v[4:5], v[114:115]
	v_add_f64_e64 v[4:5], v[108:109], -v[112:113]
	ds_load_b128 v[112:115], v254 offset:1632
	global_wb scope:SCOPE_SE
	s_wait_storecnt_dscnt 0x0
	s_barrier_signal -1
	s_barrier_wait -1
	global_inv scope:SCOPE_SE
	ds_store_b128 v254, v[71:74]
	ds_store_b128 v254, v[83:86] offset:1632
	ds_store_b128 v254, v[75:78] offset:544
	ds_store_b128 v254, v[79:82] offset:1088
	ds_store_b128 v254, v[87:90] offset:2176
	ds_store_b128 v254, v[91:94] offset:2720
	v_add_f64_e32 v[6:7], v[112:113], v[120:121]
	v_fma_f64 v[104:105], v[8:9], s[8:9], v[0:1]
	v_fma_f64 v[108:109], v[8:9], s[10:11], v[0:1]
	v_add_f64_e32 v[0:1], v[120:121], v[124:125]
	v_add_f64_e64 v[8:9], v[122:123], -v[126:127]
	v_fma_f64 v[106:107], v[4:5], s[10:11], v[2:3]
	v_fma_f64 v[110:111], v[4:5], s[8:9], v[2:3]
	v_add_f64_e32 v[2:3], v[122:123], v[126:127]
	v_add_f64_e32 v[4:5], v[114:115], v[122:123]
	v_fma_f64 v[0:1], v[0:1], -0.5, v[112:113]
	v_add_f64_e32 v[112:113], v[6:7], v[124:125]
	v_add_f64_e32 v[6:7], v[128:129], v[132:133]
	v_fma_f64 v[2:3], v[2:3], -0.5, v[114:115]
	v_add_f64_e32 v[114:115], v[4:5], v[126:127]
	v_add_f64_e64 v[4:5], v[120:121], -v[124:125]
	v_fma_f64 v[120:121], v[8:9], s[8:9], v[0:1]
	v_fma_f64 v[124:125], v[8:9], s[10:11], v[0:1]
	v_add_f64_e32 v[0:1], v[132:133], v[136:137]
	v_add_f64_e64 v[8:9], v[134:135], -v[138:139]
	v_fma_f64 v[122:123], v[4:5], s[10:11], v[2:3]
	v_fma_f64 v[126:127], v[4:5], s[8:9], v[2:3]
	v_add_f64_e32 v[2:3], v[134:135], v[138:139]
	v_add_f64_e32 v[4:5], v[130:131], v[134:135]
	v_fma_f64 v[0:1], v[0:1], -0.5, v[128:129]
	v_add_f64_e32 v[128:129], v[6:7], v[136:137]
	s_delay_alu instid0(VALU_DEP_4) | instskip(NEXT) | instid1(VALU_DEP_4)
	v_fma_f64 v[2:3], v[2:3], -0.5, v[130:131]
	v_add_f64_e32 v[130:131], v[4:5], v[138:139]
	v_add_f64_e64 v[4:5], v[132:133], -v[136:137]
	v_fma_f64 v[136:137], v[8:9], s[10:11], v[0:1]
	v_fma_f64 v[132:133], v[8:9], s[8:9], v[0:1]
	v_add_lshl_u32 v0, v241, v68, 4
	ds_store_b128 v0, v[95:98] offset:3264
	ds_store_b128 v0, v[104:107] offset:3808
	scratch_store_b32 off, v0, off offset:296 ; 4-byte Folded Spill
	v_fma_f64 v[138:139], v[4:5], s[8:9], v[2:3]
	v_fma_f64 v[134:135], v[4:5], s[10:11], v[2:3]
	ds_store_b128 v0, v[108:111] offset:4352
	v_add_lshl_u32 v0, v241, v69, 4
	ds_store_b128 v0, v[112:115] offset:4896
	ds_store_b128 v0, v[120:123] offset:5440
	scratch_store_b32 off, v0, off offset:292 ; 4-byte Folded Spill
	ds_store_b128 v0, v[124:127] offset:5984
	v_add_lshl_u32 v0, v241, v70, 4
	ds_store_b128 v0, v[128:131] offset:6528
	ds_store_b128 v0, v[132:135] offset:7072
	scratch_store_b32 off, v0, off offset:288 ; 4-byte Folded Spill
	ds_store_b128 v0, v[136:139] offset:7616
	global_wb scope:SCOPE_SE
	s_wait_storecnt_dscnt 0x0
	s_barrier_signal -1
	s_barrier_wait -1
	global_inv scope:SCOPE_SE
	s_clause 0x3
	global_load_b128 v[4:7], v12, s[2:3] offset:1360
	global_load_b128 v[8:11], v12, s[2:3] offset:1376
	;; [unrolled: 1-line block ×4, first 2 shown]
	ds_load_b128 v[72:75], v254 offset:1632
	ds_load_b128 v[88:91], v254 offset:2176
	;; [unrolled: 1-line block ×5, first 2 shown]
	s_mov_b32 s10, 0x134454ff
	s_mov_b32 s11, 0x3fee6f0e
	s_wait_alu 0xfffe
	s_mov_b32 s16, s10
	s_mov_b32 s9, 0xbfe2cf23
	ds_load_b128 v[176:179], v254 offset:544
	s_wait_loadcnt_dscnt 0x305
	v_mul_f64_e32 v[0:1], v[74:75], v[6:7]
	v_mul_f64_e32 v[2:3], v[72:73], v[6:7]
	scratch_store_b128 off, v[4:7], off offset:224 ; 16-byte Folded Spill
	s_wait_loadcnt 0x2
	scratch_store_b128 off, v[8:11], off offset:240 ; 16-byte Folded Spill
	s_wait_dscnt 0x3
	v_mul_f64_e32 v[6:7], v[76:77], v[10:11]
	s_wait_loadcnt 0x1
	scratch_store_b128 off, v[13:16], off offset:256 ; 16-byte Folded Spill
	s_wait_loadcnt 0x0
	scratch_store_b128 off, v[22:25], off offset:272 ; 16-byte Folded Spill
	v_fma_f64 v[0:1], v[72:73], v[4:5], -v[0:1]
	v_fma_f64 v[2:3], v[74:75], v[4:5], v[2:3]
	v_mul_f64_e32 v[4:5], v[78:79], v[10:11]
	s_wait_dscnt 0x2
	v_mul_f64_e32 v[10:11], v[80:81], v[15:16]
	v_fma_f64 v[6:7], v[78:79], v[8:9], v[6:7]
	s_delay_alu instid0(VALU_DEP_3) | instskip(SKIP_1) | instid1(VALU_DEP_4)
	v_fma_f64 v[4:5], v[76:77], v[8:9], -v[4:5]
	v_mul_f64_e32 v[8:9], v[82:83], v[15:16]
	v_fma_f64 v[10:11], v[82:83], v[13:14], v[10:11]
	s_delay_alu instid0(VALU_DEP_2) | instskip(SKIP_3) | instid1(VALU_DEP_4)
	v_fma_f64 v[8:9], v[80:81], v[13:14], -v[8:9]
	s_wait_dscnt 0x1
	v_mul_f64_e32 v[12:13], v[86:87], v[24:25]
	v_mul_f64_e32 v[14:15], v[84:85], v[24:25]
	v_add_f64_e64 v[154:155], v[6:7], -v[10:11]
	s_delay_alu instid0(VALU_DEP_4) | instskip(NEXT) | instid1(VALU_DEP_4)
	v_add_f64_e64 v[158:159], v[4:5], -v[8:9]
	v_fma_f64 v[12:13], v[84:85], v[22:23], -v[12:13]
	v_lshlrev_b64_e32 v[84:85], 6, v[100:101]
	v_fma_f64 v[14:15], v[86:87], v[22:23], v[14:15]
	s_delay_alu instid0(VALU_DEP_2) | instskip(SKIP_1) | instid1(VALU_DEP_3)
	v_add_co_u32 v100, s1, s2, v84
	s_wait_alu 0xf1ff
	v_add_co_ci_u32_e64 v101, s1, s3, v85, s1
	global_load_b128 v[22:25], v[100:101], off offset:1360
	v_add_f64_e64 v[156:157], v[0:1], -v[12:13]
	v_add_f64_e64 v[152:153], v[2:3], -v[14:15]
	s_wait_loadcnt 0x0
	v_mul_f64_e32 v[92:93], v[90:91], v[24:25]
	scratch_store_b128 off, v[22:25], off offset:300 ; 16-byte Folded Spill
	v_fma_f64 v[126:127], v[88:89], v[22:23], -v[92:93]
	v_mul_f64_e32 v[88:89], v[88:89], v[24:25]
	ds_load_b128 v[92:95], v254 offset:3808
	v_fma_f64 v[124:125], v[90:91], v[22:23], v[88:89]
	global_load_b128 v[22:25], v[100:101], off offset:1376
	s_wait_loadcnt_dscnt 0x0
	v_mul_f64_e32 v[96:97], v[94:95], v[24:25]
	scratch_store_b128 off, v[22:25], off offset:316 ; 16-byte Folded Spill
	v_fma_f64 v[160:161], v[92:93], v[22:23], -v[96:97]
	v_mul_f64_e32 v[92:93], v[92:93], v[24:25]
	ds_load_b128 v[96:99], v254 offset:5440
	v_fma_f64 v[162:163], v[94:95], v[22:23], v[92:93]
	global_load_b128 v[22:25], v[100:101], off offset:1392
	s_wait_loadcnt_dscnt 0x0
	v_mul_f64_e32 v[104:105], v[98:99], v[24:25]
	scratch_store_b128 off, v[22:25], off offset:332 ; 16-byte Folded Spill
	v_fma_f64 v[166:167], v[96:97], v[22:23], -v[104:105]
	v_mul_f64_e32 v[96:97], v[96:97], v[24:25]
	ds_load_b128 v[104:107], v254 offset:7072
	v_add_f64_e64 v[184:185], v[160:161], -v[166:167]
	v_fma_f64 v[164:165], v[98:99], v[22:23], v[96:97]
	global_load_b128 v[22:25], v[100:101], off offset:1408
	s_wait_loadcnt_dscnt 0x0
	v_mul_f64_e32 v[100:101], v[106:107], v[24:25]
	scratch_store_b128 off, v[22:25], off offset:348 ; 16-byte Folded Spill
	v_fma_f64 v[172:173], v[104:105], v[22:23], -v[100:101]
	v_mul_f64_e32 v[100:101], v[104:105], v[24:25]
	s_delay_alu instid0(VALU_DEP_1)
	v_fma_f64 v[174:175], v[106:107], v[22:23], v[100:101]
	v_lshlrev_b64_e32 v[100:101], 6, v[102:103]
	ds_load_b128 v[104:107], v254 offset:2720
	v_add_co_u32 v120, s1, s2, v100
	s_wait_alu 0xf1ff
	v_add_co_ci_u32_e64 v121, s1, s3, v101, s1
	s_mov_b32 s2, 0x4755a5e
	s_mov_b32 s3, 0x3fe2cf23
	s_wait_alu 0xfffe
	s_mov_b32 s8, s2
	global_load_b128 v[22:25], v[120:121], off offset:1360
	s_wait_loadcnt_dscnt 0x0
	v_mul_f64_e32 v[108:109], v[106:107], v[24:25]
	scratch_store_b128 off, v[22:25], off offset:364 ; 16-byte Folded Spill
	v_fma_f64 v[130:131], v[104:105], v[22:23], -v[108:109]
	v_mul_f64_e32 v[104:105], v[104:105], v[24:25]
	ds_load_b128 v[108:111], v254 offset:4352
	v_fma_f64 v[128:129], v[106:107], v[22:23], v[104:105]
	global_load_b128 v[22:25], v[120:121], off offset:1376
	s_wait_loadcnt_dscnt 0x0
	v_mul_f64_e32 v[112:113], v[110:111], v[24:25]
	scratch_store_b128 off, v[22:25], off offset:380 ; 16-byte Folded Spill
	v_fma_f64 v[132:133], v[108:109], v[22:23], -v[112:113]
	v_mul_f64_e32 v[108:109], v[108:109], v[24:25]
	ds_load_b128 v[112:115], v254 offset:5984
	v_fma_f64 v[134:135], v[110:111], v[22:23], v[108:109]
	global_load_b128 v[108:111], v[120:121], off offset:1392
	s_wait_loadcnt_dscnt 0x0
	v_mul_f64_e32 v[122:123], v[114:115], v[110:111]
	s_delay_alu instid0(VALU_DEP_1) | instskip(SKIP_1) | instid1(VALU_DEP_1)
	v_fma_f64 v[142:143], v[112:113], v[108:109], -v[122:123]
	v_mul_f64_e32 v[112:113], v[112:113], v[110:111]
	v_fma_f64 v[140:141], v[114:115], v[108:109], v[112:113]
	global_load_b128 v[112:115], v[120:121], off offset:1408
	ds_load_b128 v[120:123], v254 offset:7616
	s_wait_loadcnt_dscnt 0x0
	v_mul_f64_e32 v[136:137], v[122:123], v[114:115]
	s_delay_alu instid0(VALU_DEP_1) | instskip(SKIP_2) | instid1(VALU_DEP_3)
	v_fma_f64 v[180:181], v[120:121], v[112:113], -v[136:137]
	v_mul_f64_e32 v[120:121], v[120:121], v[114:115]
	v_add_f64_e32 v[136:137], v[4:5], v[8:9]
	v_add_f64_e64 v[188:189], v[130:131], -v[180:181]
	s_delay_alu instid0(VALU_DEP_3) | instskip(SKIP_2) | instid1(VALU_DEP_1)
	v_fma_f64 v[182:183], v[122:123], v[112:113], v[120:121]
	v_add_f64_e64 v[120:121], v[0:1], -v[4:5]
	v_add_f64_e64 v[122:123], v[12:13], -v[8:9]
	v_add_f64_e32 v[144:145], v[120:121], v[122:123]
	v_add_f64_e64 v[120:121], v[2:3], -v[6:7]
	v_add_f64_e64 v[122:123], v[14:15], -v[10:11]
	s_delay_alu instid0(VALU_DEP_1) | instskip(SKIP_4) | instid1(VALU_DEP_1)
	v_add_f64_e32 v[146:147], v[120:121], v[122:123]
	ds_load_b128 v[120:123], v254
	s_wait_dscnt 0x0
	v_fma_f64 v[148:149], v[136:137], -0.5, v[120:121]
	v_add_f64_e32 v[136:137], v[6:7], v[10:11]
	v_fma_f64 v[150:151], v[136:137], -0.5, v[122:123]
	s_delay_alu instid0(VALU_DEP_3) | instskip(SKIP_1) | instid1(VALU_DEP_3)
	v_fma_f64 v[136:137], v[152:153], s[10:11], v[148:149]
	v_fma_f64 v[148:149], v[152:153], s[16:17], v[148:149]
	;; [unrolled: 1-line block ×4, first 2 shown]
	s_delay_alu instid0(VALU_DEP_4) | instskip(SKIP_1) | instid1(VALU_DEP_4)
	v_fma_f64 v[136:137], v[154:155], s[2:3], v[136:137]
	s_wait_alu 0xfffe
	v_fma_f64 v[148:149], v[154:155], s[8:9], v[148:149]
	s_delay_alu instid0(VALU_DEP_4) | instskip(NEXT) | instid1(VALU_DEP_4)
	v_fma_f64 v[138:139], v[158:159], s[8:9], v[138:139]
	v_fma_f64 v[150:151], v[158:159], s[2:3], v[150:151]
	s_delay_alu instid0(VALU_DEP_4) | instskip(NEXT) | instid1(VALU_DEP_4)
	v_fma_f64 v[136:137], v[144:145], s[18:19], v[136:137]
	v_fma_f64 v[144:145], v[144:145], s[18:19], v[148:149]
	v_add_f64_e32 v[148:149], v[0:1], v[12:13]
	v_fma_f64 v[138:139], v[146:147], s[18:19], v[138:139]
	v_fma_f64 v[146:147], v[146:147], s[18:19], v[150:151]
	v_add_f64_e32 v[150:151], v[2:3], v[14:15]
	s_delay_alu instid0(VALU_DEP_4) | instskip(SKIP_2) | instid1(VALU_DEP_4)
	v_fma_f64 v[148:149], v[148:149], -0.5, v[120:121]
	v_add_f64_e32 v[120:121], v[120:121], v[0:1]
	v_add_f64_e64 v[0:1], v[4:5], -v[0:1]
	v_fma_f64 v[150:151], v[150:151], -0.5, v[122:123]
	v_add_f64_e32 v[122:123], v[122:123], v[2:3]
	v_add_f64_e64 v[2:3], v[6:7], -v[2:3]
	v_add_f64_e32 v[4:5], v[120:121], v[4:5]
	s_delay_alu instid0(VALU_DEP_3) | instskip(NEXT) | instid1(VALU_DEP_2)
	v_add_f64_e32 v[120:121], v[122:123], v[6:7]
	v_add_f64_e32 v[4:5], v[4:5], v[8:9]
	v_add_f64_e64 v[8:9], v[8:9], -v[12:13]
	s_delay_alu instid0(VALU_DEP_3) | instskip(NEXT) | instid1(VALU_DEP_3)
	v_add_f64_e32 v[6:7], v[120:121], v[10:11]
	v_add_f64_e32 v[120:121], v[4:5], v[12:13]
	v_add_f64_e64 v[4:5], v[10:11], -v[14:15]
	v_fma_f64 v[10:11], v[154:155], s[10:11], v[148:149]
	v_fma_f64 v[12:13], v[158:159], s[10:11], v[150:151]
	v_add_f64_e32 v[0:1], v[0:1], v[8:9]
	v_add_f64_e32 v[122:123], v[6:7], v[14:15]
	v_fma_f64 v[6:7], v[154:155], s[16:17], v[148:149]
	v_fma_f64 v[14:15], v[158:159], s[16:17], v[150:151]
	v_add_f64_e32 v[2:3], v[2:3], v[4:5]
	v_fma_f64 v[8:9], v[156:157], s[8:9], v[12:13]
	s_delay_alu instid0(VALU_DEP_4)
	v_fma_f64 v[4:5], v[152:153], s[2:3], v[6:7]
	v_fma_f64 v[6:7], v[152:153], s[8:9], v[10:11]
	;; [unrolled: 1-line block ×3, first 2 shown]
	v_add_f64_e64 v[14:15], v[126:127], -v[172:173]
	v_fma_f64 v[150:151], v[2:3], s[18:19], v[8:9]
	v_add_f64_e64 v[8:9], v[124:125], -v[174:175]
	v_fma_f64 v[148:149], v[0:1], s[18:19], v[4:5]
	v_fma_f64 v[152:153], v[0:1], s[18:19], v[6:7]
	;; [unrolled: 1-line block ×3, first 2 shown]
	v_add_f64_e64 v[0:1], v[126:127], -v[160:161]
	v_add_f64_e64 v[2:3], v[172:173], -v[166:167]
	;; [unrolled: 1-line block ×3, first 2 shown]
	v_add_f64_e32 v[6:7], v[162:163], v[164:165]
	v_add_f64_e64 v[10:11], v[162:163], -v[164:165]
	s_delay_alu instid0(VALU_DEP_4) | instskip(SKIP_1) | instid1(VALU_DEP_4)
	v_add_f64_e32 v[0:1], v[0:1], v[2:3]
	v_add_f64_e64 v[2:3], v[124:125], -v[162:163]
	v_fma_f64 v[6:7], v[6:7], -0.5, v[178:179]
	s_delay_alu instid0(VALU_DEP_2) | instskip(SKIP_1) | instid1(VALU_DEP_3)
	v_add_f64_e32 v[2:3], v[2:3], v[4:5]
	v_add_f64_e32 v[4:5], v[160:161], v[166:167]
	v_fma_f64 v[156:157], v[14:15], s[16:17], v[6:7]
	v_fma_f64 v[6:7], v[14:15], s[10:11], v[6:7]
	s_delay_alu instid0(VALU_DEP_3) | instskip(NEXT) | instid1(VALU_DEP_3)
	v_fma_f64 v[4:5], v[4:5], -0.5, v[176:177]
	v_fma_f64 v[158:159], v[184:185], s[8:9], v[156:157]
	s_delay_alu instid0(VALU_DEP_3) | instskip(NEXT) | instid1(VALU_DEP_3)
	v_fma_f64 v[6:7], v[184:185], s[2:3], v[6:7]
	v_fma_f64 v[12:13], v[8:9], s[10:11], v[4:5]
	;; [unrolled: 1-line block ×3, first 2 shown]
	s_delay_alu instid0(VALU_DEP_3)
	v_fma_f64 v[170:171], v[2:3], s[18:19], v[6:7]
	v_add_f64_e32 v[6:7], v[178:179], v[124:125]
	v_fma_f64 v[158:159], v[2:3], s[18:19], v[158:159]
	v_add_f64_e32 v[2:3], v[124:125], v[174:175]
	v_add_f64_e64 v[124:125], v[162:163], -v[124:125]
	v_fma_f64 v[12:13], v[10:11], s[2:3], v[12:13]
	v_fma_f64 v[4:5], v[10:11], s[8:9], v[4:5]
	v_add_f64_e32 v[6:7], v[6:7], v[162:163]
	v_fma_f64 v[2:3], v[2:3], -0.5, v[178:179]
	s_delay_alu instid0(VALU_DEP_4) | instskip(NEXT) | instid1(VALU_DEP_4)
	v_fma_f64 v[156:157], v[0:1], s[18:19], v[12:13]
	v_fma_f64 v[168:169], v[0:1], s[18:19], v[4:5]
	v_add_f64_e32 v[4:5], v[176:177], v[126:127]
	v_add_f64_e32 v[0:1], v[126:127], v[172:173]
	;; [unrolled: 1-line block ×3, first 2 shown]
	v_add_f64_e64 v[12:13], v[160:161], -v[126:127]
	v_add_f64_e64 v[126:127], v[166:167], -v[172:173]
	v_add_f64_e32 v[4:5], v[4:5], v[160:161]
	v_fma_f64 v[0:1], v[0:1], -0.5, v[176:177]
	v_add_f64_e32 v[162:163], v[6:7], v[174:175]
	s_delay_alu instid0(VALU_DEP_4) | instskip(NEXT) | instid1(VALU_DEP_4)
	v_add_f64_e32 v[12:13], v[12:13], v[126:127]
	v_add_f64_e32 v[4:5], v[4:5], v[166:167]
	s_delay_alu instid0(VALU_DEP_4)
	v_fma_f64 v[6:7], v[10:11], s[16:17], v[0:1]
	v_fma_f64 v[0:1], v[10:11], s[10:11], v[0:1]
	;; [unrolled: 1-line block ×4, first 2 shown]
	ds_load_b128 v[184:187], v254 offset:1088
	v_add_f64_e32 v[160:161], v[4:5], v[172:173]
	v_add_f64_e64 v[4:5], v[164:165], -v[174:175]
	v_fma_f64 v[0:1], v[8:9], s[8:9], v[0:1]
	v_fma_f64 v[6:7], v[8:9], s[2:3], v[6:7]
	;; [unrolled: 1-line block ×4, first 2 shown]
	v_add_f64_e64 v[14:15], v[132:133], -v[142:143]
	v_add_f64_e64 v[10:11], v[128:129], -v[182:183]
	v_add_f64_e32 v[4:5], v[124:125], v[4:5]
	v_fma_f64 v[176:177], v[12:13], s[18:19], v[0:1]
	v_add_f64_e64 v[0:1], v[132:133], -v[130:131]
	v_fma_f64 v[172:173], v[12:13], s[18:19], v[6:7]
	v_add_f64_e32 v[6:7], v[128:129], v[182:183]
	v_fma_f64 v[178:179], v[4:5], s[18:19], v[2:3]
	v_add_f64_e64 v[2:3], v[142:143], -v[180:181]
	v_fma_f64 v[174:175], v[4:5], s[18:19], v[8:9]
	v_add_f64_e64 v[4:5], v[140:141], -v[182:183]
	s_wait_dscnt 0x0
	v_fma_f64 v[6:7], v[6:7], -0.5, v[186:187]
	v_add_f64_e64 v[8:9], v[134:135], -v[140:141]
	v_add_f64_e32 v[0:1], v[0:1], v[2:3]
	v_add_f64_e64 v[2:3], v[134:135], -v[128:129]
	s_delay_alu instid0(VALU_DEP_4) | instskip(SKIP_1) | instid1(VALU_DEP_3)
	v_fma_f64 v[124:125], v[14:15], s[10:11], v[6:7]
	v_fma_f64 v[6:7], v[14:15], s[16:17], v[6:7]
	v_add_f64_e32 v[2:3], v[2:3], v[4:5]
	v_add_f64_e32 v[4:5], v[130:131], v[180:181]
	s_delay_alu instid0(VALU_DEP_4) | instskip(NEXT) | instid1(VALU_DEP_4)
	v_fma_f64 v[124:125], v[188:189], s[8:9], v[124:125]
	v_fma_f64 v[6:7], v[188:189], s[2:3], v[6:7]
	s_delay_alu instid0(VALU_DEP_3) | instskip(NEXT) | instid1(VALU_DEP_3)
	v_fma_f64 v[4:5], v[4:5], -0.5, v[184:185]
	v_fma_f64 v[166:167], v[2:3], s[18:19], v[124:125]
	s_delay_alu instid0(VALU_DEP_3)
	v_fma_f64 v[126:127], v[2:3], s[18:19], v[6:7]
	v_add_f64_e32 v[6:7], v[186:187], v[128:129]
	v_add_f64_e32 v[2:3], v[134:135], v[140:141]
	v_add_f64_e64 v[128:129], v[128:129], -v[134:135]
	v_fma_f64 v[12:13], v[8:9], s[16:17], v[4:5]
	v_fma_f64 v[4:5], v[8:9], s[10:11], v[4:5]
	v_add_f64_e32 v[6:7], v[6:7], v[134:135]
	v_fma_f64 v[2:3], v[2:3], -0.5, v[186:187]
	s_delay_alu instid0(VALU_DEP_4) | instskip(NEXT) | instid1(VALU_DEP_4)
	v_fma_f64 v[12:13], v[10:11], s[2:3], v[12:13]
	v_fma_f64 v[4:5], v[10:11], s[8:9], v[4:5]
	s_delay_alu instid0(VALU_DEP_4) | instskip(NEXT) | instid1(VALU_DEP_3)
	v_add_f64_e32 v[6:7], v[6:7], v[140:141]
	v_fma_f64 v[164:165], v[0:1], s[18:19], v[12:13]
	s_delay_alu instid0(VALU_DEP_3)
	v_fma_f64 v[124:125], v[0:1], s[18:19], v[4:5]
	v_add_f64_e32 v[4:5], v[184:185], v[130:131]
	v_add_f64_e32 v[0:1], v[132:133], v[142:143]
	v_add_f64_e64 v[12:13], v[130:131], -v[132:133]
	v_add_f64_e64 v[130:131], v[180:181], -v[142:143]
	v_add_f64_e32 v[186:187], v[6:7], v[182:183]
	v_add_f64_e32 v[4:5], v[4:5], v[132:133]
	v_fma_f64 v[0:1], v[0:1], -0.5, v[184:185]
	s_delay_alu instid0(VALU_DEP_4) | instskip(NEXT) | instid1(VALU_DEP_3)
	v_add_f64_e32 v[12:13], v[12:13], v[130:131]
	v_add_f64_e32 v[4:5], v[4:5], v[142:143]
	s_delay_alu instid0(VALU_DEP_3)
	v_fma_f64 v[6:7], v[10:11], s[10:11], v[0:1]
	v_fma_f64 v[0:1], v[10:11], s[16:17], v[0:1]
	;; [unrolled: 1-line block ×4, first 2 shown]
	v_add_f64_e32 v[184:185], v[4:5], v[180:181]
	v_add_f64_e64 v[4:5], v[182:183], -v[140:141]
	v_fma_f64 v[6:7], v[8:9], s[2:3], v[6:7]
	v_fma_f64 v[0:1], v[8:9], s[8:9], v[0:1]
	;; [unrolled: 1-line block ×4, first 2 shown]
	v_add_f64_e32 v[4:5], v[128:129], v[4:5]
	v_fma_f64 v[180:181], v[12:13], s[18:19], v[6:7]
	v_fma_f64 v[128:129], v[12:13], s[18:19], v[0:1]
	s_delay_alu instid0(VALU_DEP_3)
	v_fma_f64 v[182:183], v[4:5], s[18:19], v[8:9]
	v_fma_f64 v[130:131], v[4:5], s[18:19], v[2:3]
	ds_store_b128 v253, v[120:123]
	ds_store_b128 v253, v[160:163] offset:544
	ds_store_b128 v253, v[184:187] offset:1088
	;; [unrolled: 1-line block ×14, first 2 shown]
	global_wb scope:SCOPE_SE
	s_wait_storecnt_dscnt 0x0
	s_barrier_signal -1
	s_barrier_wait -1
	global_inv scope:SCOPE_SE
	s_and_saveexec_b32 s1, vcc_lo
	s_cbranch_execz .LBB0_13
; %bb.12:
	global_load_b128 v[132:135], v255, s[12:13] offset:8160
	s_add_nc_u64 s[2:3], s[12:13], 0x1fe0
	s_clause 0x4
	global_load_b128 v[140:143], v255, s[2:3] offset:480
	global_load_b128 v[188:191], v255, s[2:3] offset:960
	;; [unrolled: 1-line block ×5, first 2 shown]
	ds_load_b128 v[201:204], v253
	ds_load_b128 v[209:212], v253 offset:2880
	v_dual_mov_b32 v16, v243 :: v_dual_mov_b32 v17, v244
	ds_load_b128 v[245:248], v253 offset:5760
	ds_load_b128 v[4:7], v253 offset:6240
	;; [unrolled: 1-line block ×7, first 2 shown]
	s_wait_loadcnt_dscnt 0x508
	v_mul_f64_e32 v[0:1], v[203:204], v[134:135]
	v_mul_f64_e32 v[2:3], v[201:202], v[134:135]
	s_delay_alu instid0(VALU_DEP_2) | instskip(NEXT) | instid1(VALU_DEP_2)
	v_fma_f64 v[201:202], v[201:202], v[132:133], -v[0:1]
	v_fma_f64 v[203:204], v[203:204], v[132:133], v[2:3]
	ds_load_b128 v[132:135], v253 offset:480
	s_wait_loadcnt_dscnt 0x400
	v_mul_f64_e32 v[0:1], v[134:135], v[142:143]
	v_mul_f64_e32 v[2:3], v[132:133], v[142:143]
	s_delay_alu instid0(VALU_DEP_2) | instskip(NEXT) | instid1(VALU_DEP_2)
	v_fma_f64 v[132:133], v[132:133], v[140:141], -v[0:1]
	v_fma_f64 v[134:135], v[134:135], v[140:141], v[2:3]
	ds_load_b128 v[140:143], v253 offset:960
	;; [unrolled: 7-line block ×5, first 2 shown]
	s_wait_loadcnt_dscnt 0x0
	v_mul_f64_e32 v[0:1], v[199:200], v[207:208]
	v_mul_f64_e32 v[2:3], v[197:198], v[207:208]
	s_delay_alu instid0(VALU_DEP_2) | instskip(NEXT) | instid1(VALU_DEP_2)
	v_fma_f64 v[197:198], v[197:198], v[205:206], -v[0:1]
	v_fma_f64 v[199:200], v[199:200], v[205:206], v[2:3]
	global_load_b128 v[205:208], v255, s[2:3] offset:2880
	s_wait_loadcnt 0x0
	v_mul_f64_e32 v[0:1], v[211:212], v[207:208]
	v_mul_f64_e32 v[2:3], v[209:210], v[207:208]
	s_delay_alu instid0(VALU_DEP_2) | instskip(NEXT) | instid1(VALU_DEP_2)
	v_fma_f64 v[207:208], v[209:210], v[205:206], -v[0:1]
	v_fma_f64 v[209:210], v[211:212], v[205:206], v[2:3]
	global_load_b128 v[211:214], v255, s[2:3] offset:3360
	s_wait_loadcnt 0x0
	;; [unrolled: 7-line block ×8, first 2 shown]
	v_mul_f64_e32 v[0:1], v[6:7], v[249:250]
	v_mul_f64_e32 v[2:3], v[4:5], v[249:250]
	s_delay_alu instid0(VALU_DEP_2) | instskip(NEXT) | instid1(VALU_DEP_2)
	v_fma_f64 v[4:5], v[4:5], v[247:248], -v[0:1]
	v_fma_f64 v[6:7], v[6:7], v[247:248], v[2:3]
	global_load_b128 v[247:250], v255, s[2:3] offset:6720
	ds_load_b128 v[0:3], v253 offset:6720
	s_wait_loadcnt_dscnt 0x0
	v_mul_f64_e32 v[8:9], v[2:3], v[249:250]
	v_mul_f64_e32 v[10:11], v[0:1], v[249:250]
	s_delay_alu instid0(VALU_DEP_2) | instskip(NEXT) | instid1(VALU_DEP_2)
	v_fma_f64 v[0:1], v[0:1], v[247:248], -v[8:9]
	v_fma_f64 v[2:3], v[2:3], v[247:248], v[10:11]
	global_load_b128 v[247:250], v255, s[2:3] offset:7200
	ds_load_b128 v[8:11], v253 offset:7200
	s_wait_loadcnt_dscnt 0x0
	v_mul_f64_e32 v[12:13], v[10:11], v[249:250]
	v_mul_f64_e32 v[14:15], v[8:9], v[249:250]
	s_delay_alu instid0(VALU_DEP_2) | instskip(NEXT) | instid1(VALU_DEP_2)
	v_fma_f64 v[8:9], v[8:9], v[247:248], -v[12:13]
	v_fma_f64 v[10:11], v[10:11], v[247:248], v[14:15]
	global_load_b128 v[247:250], v255, s[2:3] offset:7680
	ds_load_b128 v[12:15], v253 offset:7680
	ds_store_b128 v253, v[201:204]
	ds_store_b128 v253, v[132:135] offset:480
	ds_store_b128 v253, v[140:143] offset:960
	;; [unrolled: 1-line block ×12, first 2 shown]
	v_dual_mov_b32 v244, v17 :: v_dual_mov_b32 v243, v16
	s_wait_loadcnt_dscnt 0xd
	v_mul_f64_e32 v[205:206], v[14:15], v[249:250]
	v_mul_f64_e32 v[211:212], v[12:13], v[249:250]
	s_delay_alu instid0(VALU_DEP_2) | instskip(NEXT) | instid1(VALU_DEP_2)
	v_fma_f64 v[12:13], v[12:13], v[247:248], -v[205:206]
	v_fma_f64 v[14:15], v[14:15], v[247:248], v[211:212]
	ds_store_b128 v253, v[4:7] offset:6240
	ds_store_b128 v253, v[0:3] offset:6720
	;; [unrolled: 1-line block ×4, first 2 shown]
.LBB0_13:
	s_wait_alu 0xfffe
	s_or_b32 exec_lo, exec_lo, s1
	global_wb scope:SCOPE_SE
	s_wait_dscnt 0x0
	s_barrier_signal -1
	s_barrier_wait -1
	global_inv scope:SCOPE_SE
	s_and_saveexec_b32 s1, vcc_lo
	s_cbranch_execz .LBB0_15
; %bb.14:
	ds_load_b128 v[120:123], v253
	ds_load_b128 v[136:139], v253 offset:480
	ds_load_b128 v[148:151], v253 offset:960
	;; [unrolled: 1-line block ×16, first 2 shown]
.LBB0_15:
	s_wait_alu 0xfffe
	s_or_b32 exec_lo, exec_lo, s1
	s_wait_dscnt 0x0
	v_add_f64_e64 v[247:248], v[138:139], -v[20:21]
	s_mov_b32 s10, 0x2a9d6da3
	s_mov_b32 s11, 0xbfe58eea
	v_add_f64_e32 v[251:252], v[136:137], v[18:19]
	v_add_f64_e64 v[22:23], v[150:151], -v[118:119]
	s_mov_b32 s2, 0x75d4884
	s_mov_b32 s3, 0x3fe7a5f6
	v_add_f64_e32 v[188:189], v[148:149], v[116:117]
	v_add_f64_e32 v[249:250], v[138:139], v[20:21]
	s_mov_b32 s8, 0x3259b75e
	s_mov_b32 s9, 0x3fb79ee6
	v_add_f64_e64 v[235:236], v[136:137], -v[18:19]
	v_add_f64_e32 v[190:191], v[150:151], v[118:119]
	v_add_f64_e64 v[203:204], v[148:149], -v[116:117]
	v_add_f64_e64 v[16:17], v[154:155], -v[130:131]
	s_mov_b32 s20, 0x6c9a05f6
	s_mov_b32 s21, 0xbfe9895b
	v_add_f64_e32 v[193:194], v[152:153], v[128:129]
	v_add_f64_e32 v[197:198], v[154:155], v[130:131]
	s_mov_b32 s16, 0x6ed5f1bb
	s_mov_b32 s17, 0xbfe348c8
	v_add_f64_e64 v[215:216], v[152:153], -v[128:129]
	v_add_f64_e64 v[26:27], v[146:147], -v[126:127]
	s_mov_b32 s42, 0xacd6c6b4
	s_mov_b32 s43, 0x3fc7851a
	;; [unrolled: 1-line block ×3, first 2 shown]
	s_wait_alu 0xfffe
	s_mov_b32 s26, s42
	v_add_f64_e32 v[199:200], v[144:145], v[124:125]
	v_add_f64_e32 v[205:206], v[146:147], v[126:127]
	s_mov_b32 s18, 0x7faef3
	s_mov_b32 s19, 0xbfef7484
	v_add_f64_e64 v[225:226], v[144:145], -v[124:125]
	v_add_f64_e64 v[24:25], v[162:163], -v[166:167]
	s_mov_b32 s34, 0x4363dd80
	s_mov_b32 s35, 0x3fe0d888
	v_add_f64_e32 v[207:208], v[160:161], v[164:165]
	v_add_f64_e32 v[209:210], v[162:163], v[166:167]
	s_mov_b32 s22, 0x910ea3b9
	v_mul_f64_e32 v[12:13], s[10:11], v[247:248]
	s_mov_b32 s23, 0xbfeb34fa
	v_add_f64_e64 v[233:234], v[160:161], -v[164:165]
	v_add_f64_e64 v[30:31], v[158:159], -v[182:183]
	v_mul_f64_e32 v[14:15], s[24:25], v[22:23]
	s_mov_b32 s46, 0x923c349f
	s_mov_b32 s47, 0x3feec746
	v_add_f64_e32 v[211:212], v[156:157], v[180:181]
	v_mul_f64_e32 v[92:93], s[2:3], v[249:250]
	v_add_f64_e32 v[217:218], v[158:159], v[182:183]
	s_mov_b32 s28, 0xc61f0d01
	s_mov_b32 s29, 0xbfd183b1
	v_mul_f64_e32 v[44:45], s[8:9], v[190:191]
	v_add_f64_e64 v[239:240], v[156:157], -v[180:181]
	v_mul_f64_e32 v[54:55], s[20:21], v[16:17]
	v_add_f64_e64 v[28:29], v[174:175], -v[186:187]
	s_mov_b32 s38, 0x7c9e640b
	s_mov_b32 s39, 0xbfeca52d
	v_mul_f64_e32 v[56:57], s[16:17], v[197:198]
	s_wait_alu 0xfffe
	s_mov_b32 s48, s38
	v_add_f64_e32 v[219:220], v[172:173], v[184:185]
	v_add_f64_e32 v[223:224], v[174:175], v[186:187]
	v_mul_f64_e32 v[58:59], s[26:27], v[26:27]
	s_mov_b32 s30, 0x2b2883cd
	s_mov_b32 s31, 0x3fdc86fa
	v_add_f64_e64 v[241:242], v[172:173], -v[184:185]
	v_add_f64_e64 v[76:77], v[178:179], -v[170:171]
	s_mov_b32 s40, 0x5d8e7cdc
	v_mul_f64_e32 v[50:51], s[18:19], v[205:206]
	s_mov_b32 s41, 0xbfd71e95
	s_mov_b32 s51, 0x3fd71e95
	s_wait_alu 0xfffe
	s_mov_b32 s50, s40
	v_mul_f64_e32 v[60:61], s[34:35], v[24:25]
	v_add_f64_e32 v[227:228], v[176:177], v[168:169]
	v_add_f64_e32 v[229:230], v[178:179], v[170:171]
	s_mov_b32 s36, 0x370991
	v_mul_f64_e32 v[64:65], s[22:23], v[209:210]
	s_mov_b32 s37, 0x3fedd6d0
	v_fma_f64 v[0:1], v[251:252], s[2:3], -v[12:13]
	v_add_f64_e64 v[245:246], v[176:177], -v[168:169]
	v_mul_f64_e32 v[94:95], s[38:39], v[247:248]
	v_mul_f64_e32 v[62:63], s[46:47], v[30:31]
	v_fma_f64 v[2:3], v[188:189], s[8:9], -v[14:15]
	v_mul_f64_e32 v[70:71], s[20:21], v[22:23]
	v_mul_f64_e32 v[96:97], s[30:31], v[249:250]
	;; [unrolled: 1-line block ×7, first 2 shown]
	v_fma_f64 v[4:5], v[203:204], s[24:25], v[44:45]
	v_mul_f64_e32 v[88:89], s[28:29], v[205:206]
	s_mov_b32 s45, 0x3fe58eea
	v_mul_f64_e32 v[66:67], s[48:49], v[28:29]
	s_mov_b32 s44, s10
	v_mul_f64_e32 v[82:83], s[2:3], v[209:210]
	s_wait_alu 0xfffe
	v_mul_f64_e32 v[86:87], s[44:45], v[24:25]
	v_mul_f64_e32 v[78:79], s[40:41], v[30:31]
	;; [unrolled: 1-line block ×6, first 2 shown]
	s_mov_b32 s53, 0xbfe0d888
	s_mov_b32 s52, s34
	v_mul_f64_e32 v[72:73], s[50:51], v[76:77]
	s_wait_alu 0xfffe
	v_mul_f64_e32 v[52:53], s[52:53], v[76:77]
	global_wb scope:SCOPE_SE
	s_barrier_signal -1
	s_barrier_wait -1
	global_inv scope:SCOPE_SE
	v_mul_f64_e32 v[46:47], s[36:37], v[229:230]
	v_mul_f64_e32 v[98:99], s[22:23], v[229:230]
	v_add_f64_e32 v[0:1], v[120:121], v[0:1]
	s_delay_alu instid0(VALU_DEP_1) | instskip(SKIP_1) | instid1(VALU_DEP_1)
	v_add_f64_e32 v[0:1], v[2:3], v[0:1]
	v_fma_f64 v[2:3], v[235:236], s[10:11], v[92:93]
	v_add_f64_e32 v[2:3], v[122:123], v[2:3]
	s_delay_alu instid0(VALU_DEP_1) | instskip(SKIP_1) | instid1(VALU_DEP_1)
	v_add_f64_e32 v[2:3], v[4:5], v[2:3]
	v_fma_f64 v[4:5], v[193:194], s[16:17], -v[54:55]
	v_add_f64_e32 v[0:1], v[4:5], v[0:1]
	v_fma_f64 v[4:5], v[215:216], s[20:21], v[56:57]
	s_delay_alu instid0(VALU_DEP_1) | instskip(SKIP_1) | instid1(VALU_DEP_1)
	v_add_f64_e32 v[2:3], v[4:5], v[2:3]
	v_fma_f64 v[4:5], v[199:200], s[18:19], -v[58:59]
	v_add_f64_e32 v[0:1], v[4:5], v[0:1]
	v_fma_f64 v[4:5], v[225:226], s[26:27], v[50:51]
	;; [unrolled: 5-line block ×6, first 2 shown]
	v_fma_f64 v[4:5], v[203:204], s[20:21], v[10:11]
	s_delay_alu instid0(VALU_DEP_2) | instskip(SKIP_2) | instid1(VALU_DEP_2)
	v_add_f64_e32 v[134:135], v[0:1], v[2:3]
	v_fma_f64 v[0:1], v[251:252], s[30:31], -v[94:95]
	v_fma_f64 v[2:3], v[188:189], s[16:17], -v[70:71]
	v_add_f64_e32 v[0:1], v[120:121], v[0:1]
	s_delay_alu instid0(VALU_DEP_1) | instskip(SKIP_1) | instid1(VALU_DEP_1)
	v_add_f64_e32 v[0:1], v[2:3], v[0:1]
	v_fma_f64 v[2:3], v[235:236], s[38:39], v[96:97]
	v_add_f64_e32 v[2:3], v[122:123], v[2:3]
	s_delay_alu instid0(VALU_DEP_1) | instskip(SKIP_1) | instid1(VALU_DEP_1)
	v_add_f64_e32 v[2:3], v[4:5], v[2:3]
	v_fma_f64 v[4:5], v[193:194], s[18:19], -v[8:9]
	v_add_f64_e32 v[0:1], v[4:5], v[0:1]
	v_fma_f64 v[4:5], v[215:216], s[42:43], v[80:81]
	s_delay_alu instid0(VALU_DEP_1) | instskip(SKIP_1) | instid1(VALU_DEP_1)
	v_add_f64_e32 v[2:3], v[4:5], v[2:3]
	v_fma_f64 v[4:5], v[199:200], s[28:29], -v[74:75]
	v_add_f64_e32 v[0:1], v[4:5], v[0:1]
	v_fma_f64 v[4:5], v[225:226], s[46:47], v[88:89]
	;; [unrolled: 5-line block ×6, first 2 shown]
	s_delay_alu instid0(VALU_DEP_1)
	v_add_f64_e32 v[142:143], v[0:1], v[2:3]
	s_and_saveexec_b32 s1, vcc_lo
	s_cbranch_execz .LBB0_17
; %bb.16:
	v_add_f64_e32 v[2:3], v[120:121], v[136:137]
	v_add_f64_e32 v[0:1], v[122:123], v[138:139]
	s_mov_b32 s57, 0xbfeec746
	s_mov_b32 s56, s46
	;; [unrolled: 1-line block ×5, first 2 shown]
	s_wait_alu 0xfffe
	v_mul_f64_e32 v[195:196], s[54:55], v[245:246]
	s_mov_b32 s58, s20
	v_mul_f64_e32 v[201:202], s[26:27], v[30:31]
	v_mul_f64_e32 v[213:214], s[44:45], v[241:242]
	;; [unrolled: 1-line block ×6, first 2 shown]
	v_add_f64_e32 v[2:3], v[2:3], v[148:149]
	v_add_f64_e32 v[0:1], v[0:1], v[150:151]
	v_mul_f64_e32 v[148:149], s[26:27], v[247:248]
	v_mul_f64_e32 v[150:151], s[52:53], v[247:248]
	s_delay_alu instid0(VALU_DEP_4) | instskip(NEXT) | instid1(VALU_DEP_4)
	v_add_f64_e32 v[2:3], v[2:3], v[152:153]
	v_add_f64_e32 v[0:1], v[0:1], v[154:155]
	v_mul_f64_e32 v[152:153], s[20:21], v[247:248]
	v_mul_f64_e32 v[154:155], s[24:25], v[247:248]
	s_delay_alu instid0(VALU_DEP_4) | instskip(NEXT) | instid1(VALU_DEP_4)
	v_add_f64_e32 v[2:3], v[2:3], v[144:145]
	v_add_f64_e32 v[0:1], v[0:1], v[146:147]
	s_delay_alu instid0(VALU_DEP_2) | instskip(NEXT) | instid1(VALU_DEP_2)
	v_add_f64_e32 v[2:3], v[2:3], v[160:161]
	v_add_f64_e32 v[0:1], v[0:1], v[162:163]
	v_fma_f64 v[160:161], v[251:252], s[18:19], -v[148:149]
	v_fma_f64 v[148:149], v[251:252], s[18:19], v[148:149]
	v_fma_f64 v[162:163], v[251:252], s[22:23], -v[150:151]
	v_fma_f64 v[150:151], v[251:252], s[22:23], v[150:151]
	v_add_f64_e32 v[2:3], v[2:3], v[156:157]
	v_add_f64_e32 v[0:1], v[0:1], v[158:159]
	v_mul_f64_e32 v[158:159], s[56:57], v[247:248]
	v_mul_f64_e32 v[156:157], s[40:41], v[247:248]
	v_add_f64_e32 v[160:161], v[120:121], v[160:161]
	v_add_f64_e32 v[148:149], v[120:121], v[148:149]
	;; [unrolled: 1-line block ×4, first 2 shown]
	v_mul_f64_e32 v[247:248], s[48:49], v[30:31]
	v_add_f64_e32 v[2:3], v[2:3], v[172:173]
	v_add_f64_e32 v[0:1], v[0:1], v[174:175]
	v_dual_mov_b32 v173, v53 :: v_dual_mov_b32 v172, v52
	v_dual_mov_b32 v53, v11 :: v_dual_mov_b32 v52, v10
	v_mul_f64_e32 v[10:11], s[2:3], v[251:252]
	v_add_f64_e32 v[2:3], v[2:3], v[176:177]
	v_add_f64_e32 v[0:1], v[0:1], v[178:179]
	s_delay_alu instid0(VALU_DEP_3) | instskip(SKIP_1) | instid1(VALU_DEP_4)
	v_add_f64_e32 v[10:11], v[10:11], v[12:13]
	v_mul_f64_e32 v[12:13], s[26:27], v[235:236]
	v_add_f64_e32 v[2:3], v[2:3], v[168:169]
	s_delay_alu instid0(VALU_DEP_4)
	v_add_f64_e32 v[0:1], v[0:1], v[170:171]
	v_fma_f64 v[170:171], v[251:252], s[28:29], -v[158:159]
	v_fma_f64 v[168:169], v[251:252], s[36:37], -v[156:157]
	v_fma_f64 v[156:157], v[251:252], s[36:37], v[156:157]
	v_fma_f64 v[158:159], v[251:252], s[28:29], v[158:159]
	v_add_f64_e32 v[2:3], v[2:3], v[184:185]
	v_add_f64_e32 v[0:1], v[0:1], v[186:187]
	v_dual_mov_b32 v187, v9 :: v_dual_mov_b32 v186, v8
	v_mul_f64_e32 v[8:9], s[10:11], v[235:236]
	v_add_f64_e32 v[184:185], v[120:121], v[10:11]
	v_add_f64_e32 v[106:107], v[120:121], v[168:169]
	v_mul_f64_e32 v[168:169], s[46:47], v[239:240]
	v_add_f64_e32 v[2:3], v[2:3], v[180:181]
	v_add_f64_e32 v[0:1], v[0:1], v[182:183]
	v_add_f64_e64 v[8:9], v[92:93], -v[8:9]
	v_dual_mov_b32 v93, v31 :: v_dual_mov_b32 v92, v30
	v_add_f64_e64 v[168:169], v[68:69], -v[168:169]
	v_mul_f64_e32 v[68:69], s[26:27], v[241:242]
	s_delay_alu instid0(VALU_DEP_3)
	v_mul_f64_e32 v[237:238], s[20:21], v[92:93]
	v_add_f64_e32 v[2:3], v[2:3], v[164:165]
	v_add_f64_e32 v[0:1], v[0:1], v[166:167]
	v_fma_f64 v[164:165], v[251:252], s[16:17], -v[152:153]
	v_fma_f64 v[166:167], v[251:252], s[8:9], -v[154:155]
	v_fma_f64 v[152:153], v[251:252], s[16:17], v[152:153]
	v_fma_f64 v[154:155], v[251:252], s[8:9], v[154:155]
	v_add_f64_e32 v[182:183], v[122:123], v[8:9]
	v_mul_f64_e32 v[8:9], s[50:51], v[22:23]
	v_add_f64_e32 v[2:3], v[2:3], v[124:125]
	v_add_f64_e32 v[0:1], v[0:1], v[126:127]
	v_mul_f64_e32 v[124:125], s[40:41], v[235:236]
	v_mul_f64_e32 v[126:127], s[56:57], v[235:236]
	v_add_f64_e32 v[152:153], v[120:121], v[152:153]
	v_add_f64_e32 v[154:155], v[120:121], v[154:155]
	v_fma_f64 v[10:11], v[188:189], s[36:37], -v[8:9]
	v_fma_f64 v[8:9], v[188:189], s[36:37], v[8:9]
	v_add_f64_e32 v[2:3], v[2:3], v[128:129]
	v_add_f64_e32 v[0:1], v[0:1], v[130:131]
	v_fma_f64 v[144:145], v[249:250], s[36:37], v[124:125]
	v_fma_f64 v[146:147], v[249:250], s[28:29], v[126:127]
	v_fma_f64 v[126:127], v[249:250], s[28:29], -v[126:127]
	v_fma_f64 v[128:129], v[249:250], s[18:19], v[12:13]
	v_fma_f64 v[124:125], v[249:250], s[36:37], -v[124:125]
	v_fma_f64 v[12:13], v[249:250], s[18:19], -v[12:13]
	v_add_f64_e32 v[10:11], v[10:11], v[160:161]
	v_mul_f64_e32 v[160:161], s[48:49], v[239:240]
	v_add_f64_e32 v[8:9], v[8:9], v[148:149]
	v_mul_f64_e32 v[148:149], s[24:25], v[215:216]
	v_add_f64_e32 v[4:5], v[2:3], v[116:117]
	v_dual_mov_b32 v2, v6 :: v_dual_mov_b32 v3, v7
	v_mul_f64_e32 v[6:7], s[30:31], v[251:252]
	v_add_f64_e32 v[0:1], v[0:1], v[118:119]
	v_mul_f64_e32 v[116:117], s[20:21], v[235:236]
	v_mul_f64_e32 v[118:119], s[24:25], v[235:236]
	v_add_f64_e32 v[128:129], v[122:123], v[128:129]
	v_add_f64_e32 v[12:13], v[122:123], v[12:13]
	v_mul_f64_e32 v[251:252], s[56:57], v[28:29]
	v_add_f64_e32 v[174:175], v[4:5], v[18:19]
	v_mul_f64_e32 v[4:5], s[38:39], v[235:236]
	v_mul_f64_e32 v[18:19], s[56:57], v[245:246]
	v_add_f64_e32 v[6:7], v[6:7], v[94:95]
	v_dual_mov_b32 v95, v71 :: v_dual_mov_b32 v94, v70
	v_dual_mov_b32 v71, v67 :: v_dual_mov_b32 v70, v66
	;; [unrolled: 1-line block ×4, first 2 shown]
	v_mul_f64_e32 v[14:15], s[52:53], v[235:236]
	v_add_f64_e32 v[176:177], v[0:1], v[20:21]
	v_fma_f64 v[136:137], v[249:250], s[16:17], v[116:117]
	v_fma_f64 v[138:139], v[249:250], s[8:9], v[118:119]
	v_fma_f64 v[116:117], v[249:250], s[16:17], -v[116:117]
	v_fma_f64 v[118:119], v[249:250], s[8:9], -v[118:119]
	v_mul_f64_e32 v[20:21], s[56:57], v[76:77]
	v_dual_mov_b32 v236, v85 :: v_dual_mov_b32 v235, v84
	v_mul_f64_e32 v[84:85], s[10:11], v[203:204]
	v_add_f64_e64 v[4:5], v[96:97], -v[4:5]
	v_mul_f64_e32 v[96:97], s[26:27], v[245:246]
	v_add_f64_e32 v[180:181], v[120:121], v[6:7]
	v_fma_f64 v[130:131], v[249:250], s[22:23], v[14:15]
	v_fma_f64 v[14:15], v[249:250], s[22:23], -v[14:15]
	v_mul_f64_e32 v[249:250], s[56:57], v[241:242]
	v_add_f64_e32 v[178:179], v[122:123], v[4:5]
	v_mul_f64_e32 v[4:5], s[50:51], v[203:204]
	v_add_f64_e32 v[130:131], v[122:123], v[130:131]
	v_add_f64_e32 v[0:1], v[122:123], v[14:15]
	;; [unrolled: 1-line block ×4, first 2 shown]
	v_dual_mov_b32 v157, v47 :: v_dual_mov_b32 v156, v46
	v_fma_f64 v[6:7], v[190:191], s[36:37], v[4:5]
	v_fma_f64 v[4:5], v[190:191], s[36:37], -v[4:5]
	scratch_store_b64 off, v[0:1], off offset:488 ; 8-byte Folded Spill
	v_add_f64_e32 v[0:1], v[122:123], v[136:137]
	v_add_f64_e32 v[136:137], v[122:123], v[116:117]
	;; [unrolled: 1-line block ×3, first 2 shown]
	v_mul_f64_e32 v[128:129], s[44:45], v[26:27]
	v_add_f64_e32 v[4:5], v[4:5], v[12:13]
	scratch_store_b64 off, v[0:1], off offset:480 ; 8-byte Folded Spill
	v_add_f64_e32 v[0:1], v[120:121], v[164:165]
	v_dual_mov_b32 v165, v79 :: v_dual_mov_b32 v164, v78
	scratch_store_b64 off, v[0:1], off offset:472 ; 8-byte Folded Spill
	v_add_f64_e32 v[0:1], v[122:123], v[138:139]
	v_add_f64_e32 v[138:139], v[122:123], v[118:119]
	scratch_store_b64 off, v[0:1], off offset:432 ; 8-byte Folded Spill
	v_add_f64_e32 v[0:1], v[120:121], v[166:167]
	v_dual_mov_b32 v167, v81 :: v_dual_mov_b32 v166, v80
	v_dual_mov_b32 v81, v35 :: v_dual_mov_b32 v80, v34
	;; [unrolled: 1-line block ×3, first 2 shown]
	v_mul_f64_e32 v[32:33], s[56:57], v[233:234]
	scratch_store_b64 off, v[0:1], off offset:424 ; 8-byte Folded Spill
	v_add_f64_e32 v[0:1], v[122:123], v[144:145]
	v_mul_f64_e32 v[144:145], s[20:21], v[233:234]
	v_fma_f64 v[34:35], v[209:210], s[28:29], -v[32:33]
	scratch_store_b64 off, v[0:1], off offset:416 ; 8-byte Folded Spill
	v_add_f64_e32 v[0:1], v[122:123], v[146:147]
	v_mul_f64_e32 v[146:147], s[20:21], v[24:25]
	scratch_store_b64 off, v[0:1], off offset:448 ; 8-byte Folded Spill
	v_add_f64_e32 v[0:1], v[120:121], v[170:171]
	v_dual_mov_b32 v171, v83 :: v_dual_mov_b32 v170, v82
	v_dual_mov_b32 v83, v17 :: v_dual_mov_b32 v82, v16
	s_delay_alu instid0(VALU_DEP_1)
	v_mul_f64_e32 v[104:105], s[38:39], v[82:83]
	scratch_store_b64 off, v[0:1], off offset:440 ; 8-byte Folded Spill
	v_add_f64_e32 v[0:1], v[122:123], v[126:127]
	v_mul_f64_e32 v[122:123], s[52:53], v[16:17]
	v_mul_f64_e32 v[126:127], s[44:45], v[225:226]
	v_fma_f64 v[30:31], v[193:194], s[30:31], v[104:105]
	scratch_store_b64 off, v[0:1], off offset:464 ; 8-byte Folded Spill
	v_add_f64_e32 v[0:1], v[120:121], v[158:159]
	v_mul_f64_e32 v[120:121], s[52:53], v[215:216]
	v_dual_mov_b32 v159, v49 :: v_dual_mov_b32 v158, v48
	v_mul_f64_e32 v[48:49], s[26:27], v[76:77]
	scratch_store_b64 off, v[0:1], off offset:456 ; 8-byte Folded Spill
	v_fma_f64 v[116:117], v[197:198], s[22:23], v[120:121]
	v_mul_f64_e32 v[0:1], s[52:53], v[241:242]
	s_delay_alu instid0(VALU_DEP_2) | instskip(SKIP_1) | instid1(VALU_DEP_1)
	v_add_f64_e32 v[6:7], v[116:117], v[6:7]
	v_fma_f64 v[116:117], v[193:194], s[22:23], -v[122:123]
	v_add_f64_e32 v[10:11], v[116:117], v[10:11]
	v_fma_f64 v[116:117], v[205:206], s[2:3], v[126:127]
	s_delay_alu instid0(VALU_DEP_1) | instskip(SKIP_1) | instid1(VALU_DEP_1)
	v_add_f64_e32 v[6:7], v[116:117], v[6:7]
	v_fma_f64 v[116:117], v[199:200], s[2:3], -v[128:129]
	v_add_f64_e32 v[10:11], v[116:117], v[10:11]
	v_fma_f64 v[116:117], v[209:210], s[16:17], v[144:145]
	s_delay_alu instid0(VALU_DEP_1) | instskip(SKIP_1) | instid1(VALU_DEP_1)
	;; [unrolled: 5-line block ×5, first 2 shown]
	v_add_f64_e32 v[118:119], v[116:117], v[6:7]
	v_mul_f64_e32 v[6:7], s[54:55], v[76:77]
	v_fma_f64 v[116:117], v[227:228], s[8:9], -v[6:7]
	v_fma_f64 v[12:13], v[227:228], s[8:9], v[6:7]
	s_delay_alu instid0(VALU_DEP_2) | instskip(SKIP_2) | instid1(VALU_DEP_2)
	v_add_f64_e32 v[116:117], v[116:117], v[10:11]
	v_fma_f64 v[10:11], v[197:198], s[22:23], -v[120:121]
	v_fma_f64 v[120:121], v[197:198], s[30:31], -v[102:103]
	v_add_f64_e32 v[4:5], v[10:11], v[4:5]
	v_fma_f64 v[10:11], v[193:194], s[22:23], v[122:123]
	v_dual_mov_b32 v123, v45 :: v_dual_mov_b32 v122, v44
	v_mul_f64_e32 v[44:45], s[52:53], v[28:29]
	s_delay_alu instid0(VALU_DEP_3) | instskip(SKIP_2) | instid1(VALU_DEP_4)
	v_add_f64_e32 v[8:9], v[10:11], v[8:9]
	v_fma_f64 v[10:11], v[205:206], s[2:3], -v[126:127]
	v_mul_f64_e32 v[126:127], s[8:9], v[188:189]
	v_fma_f64 v[46:47], v[219:220], s[22:23], v[44:45]
	s_delay_alu instid0(VALU_DEP_3) | instskip(SKIP_1) | instid1(VALU_DEP_4)
	v_add_f64_e32 v[4:5], v[10:11], v[4:5]
	v_fma_f64 v[10:11], v[199:200], s[2:3], v[128:129]
	v_add_f64_e32 v[126:127], v[126:127], v[62:63]
	v_mul_f64_e32 v[128:129], s[34:35], v[233:234]
	s_delay_alu instid0(VALU_DEP_3)
	v_add_f64_e32 v[8:9], v[10:11], v[8:9]
	v_fma_f64 v[10:11], v[209:210], s[16:17], -v[144:145]
	v_mul_f64_e32 v[144:145], s[48:49], v[203:204]
	v_add_f64_e32 v[126:127], v[126:127], v[184:185]
	v_add_f64_e64 v[128:129], v[64:65], -v[128:129]
	v_mul_f64_e32 v[184:185], s[40:41], v[239:240]
	v_mul_f64_e32 v[64:65], s[44:45], v[245:246]
	v_add_f64_e32 v[4:5], v[10:11], v[4:5]
	v_fma_f64 v[10:11], v[207:208], s[16:17], v[146:147]
	v_mul_f64_e32 v[146:147], s[48:49], v[22:23]
	v_add_f64_e64 v[184:185], v[90:91], -v[184:185]
	s_delay_alu instid0(VALU_DEP_3) | instskip(SKIP_3) | instid1(VALU_DEP_3)
	v_add_f64_e32 v[8:9], v[10:11], v[8:9]
	v_fma_f64 v[10:11], v[217:218], s[30:31], -v[160:161]
	v_mul_f64_e32 v[160:161], s[24:25], v[16:17]
	v_mul_f64_e32 v[16:17], s[44:45], v[28:29]
	v_add_f64_e32 v[4:5], v[10:11], v[4:5]
	v_fma_f64 v[10:11], v[211:212], s[30:31], v[247:248]
	v_mul_f64_e32 v[247:248], s[40:41], v[233:234]
	s_delay_alu instid0(VALU_DEP_2) | instskip(SKIP_2) | instid1(VALU_DEP_2)
	v_add_f64_e32 v[8:9], v[10:11], v[8:9]
	v_fma_f64 v[10:11], v[223:224], s[28:29], -v[249:250]
	v_mul_f64_e32 v[249:250], s[40:41], v[24:25]
	v_add_f64_e32 v[4:5], v[10:11], v[4:5]
	v_fma_f64 v[10:11], v[219:220], s[28:29], v[251:252]
	v_mul_f64_e32 v[251:252], s[26:27], v[239:240]
	s_delay_alu instid0(VALU_DEP_2) | instskip(SKIP_2) | instid1(VALU_DEP_2)
	v_add_f64_e32 v[8:9], v[10:11], v[8:9]
	v_fma_f64 v[10:11], v[229:230], s[8:9], -v[195:196]
	v_mul_f64_e32 v[195:196], s[58:59], v[26:27]
	v_add_f64_e32 v[6:7], v[10:11], v[4:5]
	s_delay_alu instid0(VALU_DEP_4) | instskip(SKIP_3) | instid1(VALU_DEP_3)
	v_add_f64_e32 v[4:5], v[12:13], v[8:9]
	v_fma_f64 v[8:9], v[190:191], s[30:31], v[144:145]
	v_fma_f64 v[10:11], v[188:189], s[30:31], -v[146:147]
	v_fma_f64 v[12:13], v[197:198], s[8:9], v[148:149]
	v_add_f64_e32 v[8:9], v[8:9], v[130:131]
	s_delay_alu instid0(VALU_DEP_3) | instskip(SKIP_2) | instid1(VALU_DEP_4)
	v_add_f64_e32 v[10:11], v[10:11], v[162:163]
	v_mul_f64_e32 v[162:163], s[58:59], v[225:226]
	v_mul_f64_e32 v[130:131], s[22:23], v[207:208]
	v_add_f64_e32 v[8:9], v[12:13], v[8:9]
	v_fma_f64 v[12:13], v[193:194], s[8:9], -v[160:161]
	s_delay_alu instid0(VALU_DEP_3) | instskip(SKIP_1) | instid1(VALU_DEP_3)
	v_add_f64_e32 v[130:131], v[130:131], v[60:61]
	v_mul_f64_e32 v[60:61], s[58:59], v[241:242]
	v_add_f64_e32 v[10:11], v[12:13], v[10:11]
	v_fma_f64 v[12:13], v[205:206], s[16:17], v[162:163]
	s_delay_alu instid0(VALU_DEP_3) | instskip(NEXT) | instid1(VALU_DEP_2)
	v_fma_f64 v[62:63], v[223:224], s[16:17], -v[60:61]
	v_add_f64_e32 v[8:9], v[12:13], v[8:9]
	v_fma_f64 v[12:13], v[199:200], s[16:17], -v[195:196]
	s_delay_alu instid0(VALU_DEP_1) | instskip(SKIP_1) | instid1(VALU_DEP_1)
	v_add_f64_e32 v[10:11], v[12:13], v[10:11]
	v_fma_f64 v[12:13], v[209:210], s[36:37], v[247:248]
	v_add_f64_e32 v[8:9], v[12:13], v[8:9]
	v_fma_f64 v[12:13], v[207:208], s[36:37], -v[249:250]
	s_delay_alu instid0(VALU_DEP_1) | instskip(SKIP_1) | instid1(VALU_DEP_1)
	v_add_f64_e32 v[10:11], v[12:13], v[10:11]
	v_fma_f64 v[12:13], v[217:218], s[18:19], v[251:252]
	;; [unrolled: 5-line block ×3, first 2 shown]
	v_add_f64_e32 v[8:9], v[12:13], v[8:9]
	v_fma_f64 v[12:13], v[219:220], s[2:3], -v[16:17]
	v_fma_f64 v[16:17], v[219:220], s[2:3], v[16:17]
	s_delay_alu instid0(VALU_DEP_2) | instskip(SKIP_2) | instid1(VALU_DEP_2)
	v_add_f64_e32 v[12:13], v[12:13], v[10:11]
	v_fma_f64 v[10:11], v[229:230], s[28:29], v[18:19]
	v_fma_f64 v[18:19], v[229:230], s[28:29], -v[18:19]
	v_add_f64_e32 v[10:11], v[10:11], v[8:9]
	v_fma_f64 v[8:9], v[227:228], s[28:29], -v[20:21]
	v_fma_f64 v[20:21], v[227:228], s[28:29], v[20:21]
	s_delay_alu instid0(VALU_DEP_2) | instskip(SKIP_1) | instid1(VALU_DEP_1)
	v_add_f64_e32 v[8:9], v[8:9], v[12:13]
	v_fma_f64 v[12:13], v[190:191], s[2:3], -v[84:85]
	v_add_f64_e32 v[12:13], v[12:13], v[14:15]
	v_fma_f64 v[14:15], v[188:189], s[2:3], v[100:101]
	s_delay_alu instid0(VALU_DEP_2) | instskip(NEXT) | instid1(VALU_DEP_2)
	v_add_f64_e32 v[12:13], v[120:121], v[12:13]
	v_add_f64_e32 v[14:15], v[14:15], v[124:125]
	v_mul_f64_e32 v[124:125], s[16:17], v[193:194]
	s_delay_alu instid0(VALU_DEP_2) | instskip(SKIP_1) | instid1(VALU_DEP_3)
	v_add_f64_e32 v[14:15], v[30:31], v[14:15]
	v_mul_f64_e32 v[30:31], s[24:25], v[225:226]
	v_add_f64_e32 v[124:125], v[124:125], v[54:55]
	s_delay_alu instid0(VALU_DEP_2) | instskip(NEXT) | instid1(VALU_DEP_1)
	v_fma_f64 v[120:121], v[205:206], s[8:9], -v[30:31]
	v_add_f64_e32 v[12:13], v[120:121], v[12:13]
	v_fma_f64 v[120:121], v[199:200], s[8:9], v[221:222]
	s_delay_alu instid0(VALU_DEP_2) | instskip(SKIP_1) | instid1(VALU_DEP_3)
	v_add_f64_e32 v[12:13], v[34:35], v[12:13]
	v_mul_f64_e32 v[34:35], s[56:57], v[24:25]
	v_add_f64_e32 v[14:15], v[120:121], v[14:15]
	s_delay_alu instid0(VALU_DEP_2) | instskip(NEXT) | instid1(VALU_DEP_1)
	v_fma_f64 v[120:121], v[207:208], s[28:29], v[34:35]
	v_add_f64_e32 v[14:15], v[120:121], v[14:15]
	v_fma_f64 v[120:121], v[217:218], s[16:17], -v[231:232]
	s_delay_alu instid0(VALU_DEP_1) | instskip(SKIP_1) | instid1(VALU_DEP_1)
	v_add_f64_e32 v[12:13], v[120:121], v[12:13]
	v_fma_f64 v[120:121], v[211:212], s[16:17], v[237:238]
	v_add_f64_e32 v[14:15], v[120:121], v[14:15]
	v_fma_f64 v[120:121], v[223:224], s[22:23], -v[0:1]
	v_fma_f64 v[0:1], v[223:224], s[22:23], v[0:1]
	s_delay_alu instid0(VALU_DEP_3) | instskip(NEXT) | instid1(VALU_DEP_3)
	v_add_f64_e32 v[46:47], v[46:47], v[14:15]
	v_add_f64_e32 v[12:13], v[120:121], v[12:13]
	v_fma_f64 v[14:15], v[229:230], s[18:19], -v[96:97]
	v_mul_f64_e32 v[120:121], s[24:25], v[203:204]
	s_delay_alu instid0(VALU_DEP_2) | instskip(SKIP_1) | instid1(VALU_DEP_3)
	v_add_f64_e32 v[14:15], v[14:15], v[12:13]
	v_fma_f64 v[12:13], v[227:228], s[18:19], v[48:49]
	v_add_f64_e64 v[120:121], v[122:123], -v[120:121]
	v_mul_f64_e32 v[122:123], s[18:19], v[199:200]
	s_delay_alu instid0(VALU_DEP_3) | instskip(SKIP_1) | instid1(VALU_DEP_4)
	v_add_f64_e32 v[12:13], v[12:13], v[46:47]
	v_mul_f64_e32 v[46:47], s[26:27], v[225:226]
	v_add_f64_e32 v[120:121], v[120:121], v[182:183]
	s_delay_alu instid0(VALU_DEP_4) | instskip(SKIP_1) | instid1(VALU_DEP_4)
	v_add_f64_e32 v[122:123], v[122:123], v[58:59]
	v_mul_f64_e32 v[182:183], s[28:29], v[211:212]
	v_add_f64_e64 v[46:47], v[50:51], -v[46:47]
	v_mul_f64_e32 v[50:51], s[20:21], v[215:216]
	s_delay_alu instid0(VALU_DEP_3) | instskip(SKIP_1) | instid1(VALU_DEP_3)
	v_add_f64_e32 v[182:183], v[182:183], v[66:67]
	v_fma_f64 v[66:67], v[229:230], s[2:3], -v[64:65]
	v_add_f64_e64 v[50:51], v[56:57], -v[50:51]
	v_mul_f64_e32 v[56:57], s[52:53], v[239:240]
	s_delay_alu instid0(VALU_DEP_2)
	v_add_f64_e32 v[50:51], v[50:51], v[120:121]
	v_add_f64_e32 v[120:121], v[124:125], v[126:127]
	v_mul_f64_e32 v[124:125], s[48:49], v[241:242]
	v_mul_f64_e32 v[126:127], s[36:37], v[227:228]
	v_fma_f64 v[58:59], v[217:218], s[22:23], -v[56:57]
	v_add_f64_e32 v[46:47], v[46:47], v[50:51]
	v_add_f64_e32 v[50:51], v[122:123], v[120:121]
	v_mul_f64_e32 v[120:121], s[30:31], v[219:220]
	v_add_f64_e64 v[124:125], v[2:3], -v[124:125]
	v_mul_f64_e32 v[122:123], s[50:51], v[245:246]
	v_add_f64_e32 v[126:127], v[126:127], v[72:73]
	v_mul_f64_e32 v[72:73], s[26:27], v[28:29]
	v_add_f64_e32 v[46:47], v[128:129], v[46:47]
	v_add_f64_e32 v[50:51], v[130:131], v[50:51]
	;; [unrolled: 1-line block ×3, first 2 shown]
	v_mul_f64_e32 v[130:131], s[16:17], v[188:189]
	v_add_f64_e64 v[122:123], v[156:157], -v[122:123]
	v_mul_f64_e32 v[128:129], s[18:19], v[193:194]
	v_fma_f64 v[70:71], v[223:224], s[18:19], -v[68:69]
	v_add_f64_e32 v[46:47], v[168:169], v[46:47]
	v_add_f64_e32 v[50:51], v[182:183], v[50:51]
	v_mul_f64_e32 v[168:169], s[44:45], v[233:234]
	v_add_f64_e32 v[130:131], v[130:131], v[94:95]
	v_mul_f64_e32 v[182:183], s[2:3], v[207:208]
	v_add_f64_e32 v[128:129], v[128:129], v[186:187]
	v_add_f64_e32 v[46:47], v[124:125], v[46:47]
	v_add_f64_e32 v[50:51], v[120:121], v[50:51]
	v_mul_f64_e32 v[124:125], s[20:21], v[203:204]
	v_add_f64_e32 v[130:131], v[130:131], v[180:181]
	v_add_f64_e64 v[168:169], v[170:171], -v[168:169]
	v_add_f64_e32 v[182:183], v[182:183], v[86:87]
	v_mul_f64_e32 v[180:181], s[46:47], v[82:83]
	scratch_load_b64 v[86:87], off, off offset:488 th:TH_LOAD_LU ; 8-byte Folded Reload
	v_add_f64_e32 v[122:123], v[122:123], v[46:47]
	v_add_f64_e32 v[120:121], v[126:127], v[50:51]
	v_mul_f64_e32 v[50:51], s[42:43], v[215:216]
	v_add_f64_e64 v[124:125], v[52:53], -v[124:125]
	v_mul_f64_e32 v[46:47], s[46:47], v[225:226]
	v_mul_f64_e32 v[126:127], s[28:29], v[199:200]
	;; [unrolled: 1-line block ×3, first 2 shown]
	v_add_f64_e64 v[50:51], v[166:167], -v[50:51]
	v_add_f64_e32 v[124:125], v[124:125], v[178:179]
	v_add_f64_e64 v[46:47], v[88:89], -v[46:47]
	v_add_f64_e32 v[126:127], v[126:127], v[74:75]
	v_mul_f64_e32 v[178:179], s[36:37], v[211:212]
	v_fma_f64 v[54:55], v[209:210], s[30:31], -v[52:53]
	v_fma_f64 v[74:75], v[219:220], s[18:19], v[72:73]
	v_add_f64_e32 v[50:51], v[50:51], v[124:125]
	v_add_f64_e32 v[124:125], v[128:129], v[130:131]
	v_mul_f64_e32 v[128:129], s[24:25], v[241:242]
	v_add_f64_e32 v[178:179], v[178:179], v[164:165]
	v_mul_f64_e32 v[130:131], s[22:23], v[227:228]
	v_add_f64_e32 v[46:47], v[46:47], v[50:51]
	v_add_f64_e32 v[50:51], v[126:127], v[124:125]
	v_add_f64_e64 v[128:129], v[235:236], -v[128:129]
	v_mul_f64_e32 v[124:125], s[8:9], v[219:220]
	v_mul_f64_e32 v[126:127], s[52:53], v[245:246]
	v_add_f64_e32 v[130:131], v[130:131], v[172:173]
	v_add_f64_e32 v[46:47], v[168:169], v[46:47]
	;; [unrolled: 1-line block ×3, first 2 shown]
	v_mul_f64_e32 v[168:169], s[26:27], v[22:23]
	v_add_f64_e32 v[124:125], v[124:125], v[158:159]
	v_add_f64_e64 v[126:127], v[98:99], -v[126:127]
	v_mul_f64_e32 v[182:183], s[50:51], v[225:226]
	v_add_f64_e32 v[46:47], v[184:185], v[46:47]
	v_add_f64_e32 v[50:51], v[178:179], v[50:51]
	v_mul_f64_e32 v[178:179], s[46:47], v[215:216]
	v_mul_f64_e32 v[184:185], s[50:51], v[26:27]
	s_delay_alu instid0(VALU_DEP_4) | instskip(NEXT) | instid1(VALU_DEP_4)
	v_add_f64_e32 v[46:47], v[128:129], v[46:47]
	v_add_f64_e32 v[50:51], v[124:125], v[50:51]
	v_fma_f64 v[128:129], v[188:189], s[18:19], v[168:169]
	s_delay_alu instid0(VALU_DEP_3) | instskip(SKIP_1) | instid1(VALU_DEP_4)
	v_add_f64_e32 v[126:127], v[126:127], v[46:47]
	v_mul_f64_e32 v[46:47], s[26:27], v[203:204]
	v_add_f64_e32 v[124:125], v[130:131], v[50:51]
	v_fma_f64 v[130:131], v[197:198], s[28:29], -v[178:179]
	v_add_f64_e32 v[128:129], v[128:129], v[154:155]
	v_mul_f64_e32 v[154:155], s[46:47], v[22:23]
	v_fma_f64 v[50:51], v[190:191], s[18:19], -v[46:47]
	s_delay_alu instid0(VALU_DEP_1) | instskip(NEXT) | instid1(VALU_DEP_1)
	v_add_f64_e32 v[50:51], v[50:51], v[138:139]
	v_add_f64_e32 v[50:51], v[130:131], v[50:51]
	v_fma_f64 v[130:131], v[193:194], s[28:29], v[180:181]
	s_delay_alu instid0(VALU_DEP_1) | instskip(SKIP_1) | instid1(VALU_DEP_1)
	v_add_f64_e32 v[128:129], v[130:131], v[128:129]
	v_fma_f64 v[130:131], v[205:206], s[36:37], -v[182:183]
	v_add_f64_e32 v[50:51], v[130:131], v[50:51]
	v_fma_f64 v[130:131], v[199:200], s[36:37], v[184:185]
	s_delay_alu instid0(VALU_DEP_2) | instskip(SKIP_1) | instid1(VALU_DEP_3)
	v_add_f64_e32 v[50:51], v[54:55], v[50:51]
	v_mul_f64_e32 v[54:55], s[38:39], v[24:25]
	v_add_f64_e32 v[128:129], v[130:131], v[128:129]
	s_delay_alu instid0(VALU_DEP_3) | instskip(NEXT) | instid1(VALU_DEP_3)
	v_add_f64_e32 v[50:51], v[58:59], v[50:51]
	v_fma_f64 v[130:131], v[207:208], s[30:31], v[54:55]
	v_mul_f64_e32 v[58:59], s[52:53], v[92:93]
	s_delay_alu instid0(VALU_DEP_3) | instskip(NEXT) | instid1(VALU_DEP_3)
	v_add_f64_e32 v[50:51], v[62:63], v[50:51]
	v_add_f64_e32 v[128:129], v[130:131], v[128:129]
	s_delay_alu instid0(VALU_DEP_3) | instskip(SKIP_1) | instid1(VALU_DEP_2)
	v_fma_f64 v[130:131], v[211:212], s[22:23], v[58:59]
	v_mul_f64_e32 v[62:63], s[58:59], v[28:29]
	v_add_f64_e32 v[128:129], v[130:131], v[128:129]
	s_delay_alu instid0(VALU_DEP_2) | instskip(NEXT) | instid1(VALU_DEP_1)
	v_fma_f64 v[130:131], v[219:220], s[16:17], v[62:63]
	v_add_f64_e32 v[128:129], v[130:131], v[128:129]
	v_add_f64_e32 v[130:131], v[66:67], v[50:51]
	v_mul_f64_e32 v[50:51], s[44:45], v[76:77]
	s_delay_alu instid0(VALU_DEP_1) | instskip(NEXT) | instid1(VALU_DEP_1)
	v_fma_f64 v[66:67], v[227:228], s[2:3], v[50:51]
	v_add_f64_e32 v[128:129], v[66:67], v[128:129]
	v_mul_f64_e32 v[66:67], s[46:47], v[203:204]
	s_delay_alu instid0(VALU_DEP_1) | instskip(NEXT) | instid1(VALU_DEP_1)
	v_fma_f64 v[138:139], v[190:191], s[28:29], -v[66:67]
	v_add_f64_e32 v[136:137], v[138:139], v[136:137]
	v_fma_f64 v[138:139], v[188:189], s[28:29], v[154:155]
	s_delay_alu instid0(VALU_DEP_1) | instskip(SKIP_1) | instid1(VALU_DEP_1)
	v_add_f64_e32 v[138:139], v[138:139], v[152:153]
	v_mul_f64_e32 v[152:153], s[40:41], v[215:216]
	v_fma_f64 v[166:167], v[197:198], s[36:37], -v[152:153]
	s_delay_alu instid0(VALU_DEP_1) | instskip(SKIP_1) | instid1(VALU_DEP_1)
	v_add_f64_e32 v[136:137], v[166:167], v[136:137]
	v_mul_f64_e32 v[166:167], s[40:41], v[82:83]
	v_fma_f64 v[186:187], v[193:194], s[36:37], v[166:167]
	s_delay_alu instid0(VALU_DEP_1) | instskip(SKIP_1) | instid1(VALU_DEP_1)
	v_add_f64_e32 v[138:139], v[186:187], v[138:139]
	v_mul_f64_e32 v[186:187], s[52:53], v[225:226]
	v_fma_f64 v[170:171], v[205:206], s[22:23], -v[186:187]
	s_delay_alu instid0(VALU_DEP_1) | instskip(SKIP_1) | instid1(VALU_DEP_1)
	v_add_f64_e32 v[136:137], v[170:171], v[136:137]
	v_mul_f64_e32 v[170:171], s[52:53], v[26:27]
	;; [unrolled: 8-line block ×3, first 2 shown]
	v_fma_f64 v[235:236], v[207:208], s[8:9], v[158:159]
	s_delay_alu instid0(VALU_DEP_1) | instskip(SKIP_1) | instid1(VALU_DEP_1)
	v_add_f64_e32 v[138:139], v[235:236], v[138:139]
	v_mul_f64_e32 v[235:236], s[10:11], v[239:240]
	v_fma_f64 v[164:165], v[217:218], s[2:3], -v[235:236]
	s_delay_alu instid0(VALU_DEP_1) | instskip(SKIP_1) | instid1(VALU_DEP_2)
	v_add_f64_e32 v[136:137], v[164:165], v[136:137]
	v_mul_f64_e32 v[164:165], s[10:11], v[92:93]
	v_add_f64_e32 v[70:71], v[70:71], v[136:137]
	s_delay_alu instid0(VALU_DEP_2) | instskip(NEXT) | instid1(VALU_DEP_1)
	v_fma_f64 v[2:3], v[211:212], s[2:3], v[164:165]
	v_add_f64_e32 v[2:3], v[2:3], v[138:139]
	s_delay_alu instid0(VALU_DEP_1) | instskip(SKIP_1) | instid1(VALU_DEP_1)
	v_add_f64_e32 v[2:3], v[74:75], v[2:3]
	v_mul_f64_e32 v[74:75], s[48:49], v[245:246]
	v_fma_f64 v[136:137], v[229:230], s[30:31], -v[74:75]
	s_delay_alu instid0(VALU_DEP_1) | instskip(SKIP_1) | instid1(VALU_DEP_1)
	v_add_f64_e32 v[138:139], v[136:137], v[70:71]
	v_mul_f64_e32 v[70:71], s[48:49], v[76:77]
	v_fma_f64 v[136:137], v[227:228], s[30:31], v[70:71]
	s_delay_alu instid0(VALU_DEP_1) | instskip(SKIP_4) | instid1(VALU_DEP_3)
	v_add_f64_e32 v[136:137], v[136:137], v[2:3]
	v_fma_f64 v[2:3], v[190:191], s[30:31], -v[144:145]
	v_fma_f64 v[144:145], v[188:189], s[30:31], v[146:147]
	v_fma_f64 v[146:147], v[197:198], s[8:9], -v[148:149]
	s_wait_loadcnt 0x0
	v_add_f64_e32 v[2:3], v[2:3], v[86:87]
	s_delay_alu instid0(VALU_DEP_3) | instskip(NEXT) | instid1(VALU_DEP_2)
	v_add_f64_e32 v[144:145], v[144:145], v[150:151]
	v_add_f64_e32 v[2:3], v[146:147], v[2:3]
	v_fma_f64 v[146:147], v[193:194], s[8:9], v[160:161]
	v_mul_f64_e32 v[160:161], s[54:55], v[92:93]
	s_delay_alu instid0(VALU_DEP_2) | instskip(SKIP_2) | instid1(VALU_DEP_2)
	v_add_f64_e32 v[144:145], v[146:147], v[144:145]
	v_fma_f64 v[146:147], v[205:206], s[16:17], -v[162:163]
	v_mul_f64_e32 v[162:163], s[40:41], v[241:242]
	v_add_f64_e32 v[2:3], v[146:147], v[2:3]
	v_fma_f64 v[146:147], v[199:200], s[16:17], v[195:196]
	s_delay_alu instid0(VALU_DEP_1) | instskip(SKIP_1) | instid1(VALU_DEP_1)
	v_add_f64_e32 v[144:145], v[146:147], v[144:145]
	v_fma_f64 v[146:147], v[209:210], s[36:37], -v[247:248]
	v_add_f64_e32 v[2:3], v[146:147], v[2:3]
	v_fma_f64 v[146:147], v[207:208], s[36:37], v[249:250]
	s_delay_alu instid0(VALU_DEP_1) | instskip(SKIP_1) | instid1(VALU_DEP_1)
	v_add_f64_e32 v[144:145], v[146:147], v[144:145]
	v_fma_f64 v[146:147], v[217:218], s[18:19], -v[251:252]
	v_add_f64_e32 v[2:3], v[146:147], v[2:3]
	v_fma_f64 v[146:147], v[211:212], s[18:19], v[201:202]
	s_delay_alu instid0(VALU_DEP_1) | instskip(SKIP_1) | instid1(VALU_DEP_2)
	v_add_f64_e32 v[144:145], v[146:147], v[144:145]
	v_fma_f64 v[146:147], v[223:224], s[2:3], -v[213:214]
	v_add_f64_e32 v[16:17], v[16:17], v[144:145]
	s_delay_alu instid0(VALU_DEP_2) | instskip(NEXT) | instid1(VALU_DEP_2)
	v_add_f64_e32 v[2:3], v[146:147], v[2:3]
	v_add_f64_e32 v[144:145], v[20:21], v[16:17]
	scratch_load_b64 v[16:17], off, off offset:480 th:TH_LOAD_LU ; 8-byte Folded Reload
	v_add_f64_e32 v[146:147], v[18:19], v[2:3]
	scratch_load_b64 v[18:19], off, off offset:472 th:TH_LOAD_LU ; 8-byte Folded Reload
	v_fma_f64 v[2:3], v[190:191], s[28:29], v[66:67]
	v_fma_f64 v[20:21], v[227:228], s[30:31], -v[70:71]
	v_mul_f64_e32 v[66:67], s[44:45], v[215:216]
	s_wait_loadcnt 0x1
	s_delay_alu instid0(VALU_DEP_3) | instskip(SKIP_2) | instid1(VALU_DEP_1)
	v_add_f64_e32 v[2:3], v[2:3], v[16:17]
	v_fma_f64 v[16:17], v[188:189], s[28:29], -v[154:155]
	s_wait_loadcnt 0x0
	v_add_f64_e32 v[16:17], v[16:17], v[18:19]
	v_fma_f64 v[18:19], v[197:198], s[36:37], v[152:153]
	s_delay_alu instid0(VALU_DEP_1) | instskip(SKIP_2) | instid1(VALU_DEP_2)
	v_add_f64_e32 v[2:3], v[18:19], v[2:3]
	v_fma_f64 v[18:19], v[193:194], s[36:37], -v[166:167]
	v_mul_f64_e32 v[166:167], s[20:21], v[245:246]
	v_add_f64_e32 v[16:17], v[18:19], v[16:17]
	v_fma_f64 v[18:19], v[205:206], s[22:23], v[186:187]
	s_delay_alu instid0(VALU_DEP_1) | instskip(SKIP_2) | instid1(VALU_DEP_2)
	v_add_f64_e32 v[2:3], v[18:19], v[2:3]
	v_fma_f64 v[18:19], v[199:200], s[22:23], -v[170:171]
	v_mul_f64_e32 v[170:171], s[20:21], v[76:77]
	v_add_f64_e32 v[16:17], v[18:19], v[16:17]
	v_fma_f64 v[18:19], v[209:210], s[8:9], v[156:157]
	v_mul_f64_e32 v[156:157], s[26:27], v[24:25]
	s_delay_alu instid0(VALU_DEP_2) | instskip(SKIP_2) | instid1(VALU_DEP_2)
	v_add_f64_e32 v[2:3], v[18:19], v[2:3]
	v_fma_f64 v[18:19], v[207:208], s[8:9], -v[158:159]
	v_mul_f64_e32 v[158:159], s[54:55], v[239:240]
	v_add_f64_e32 v[16:17], v[18:19], v[16:17]
	v_fma_f64 v[18:19], v[217:218], s[2:3], v[235:236]
	s_delay_alu instid0(VALU_DEP_1) | instskip(SKIP_2) | instid1(VALU_DEP_2)
	v_add_f64_e32 v[2:3], v[18:19], v[2:3]
	v_fma_f64 v[18:19], v[211:212], s[2:3], -v[164:165]
	v_mul_f64_e32 v[164:165], s[40:41], v[28:29]
	v_add_f64_e32 v[16:17], v[18:19], v[16:17]
	v_fma_f64 v[18:19], v[223:224], s[18:19], v[68:69]
	v_fma_f64 v[68:69], v[197:198], s[2:3], -v[66:67]
	s_delay_alu instid0(VALU_DEP_2) | instskip(SKIP_1) | instid1(VALU_DEP_1)
	v_add_f64_e32 v[2:3], v[18:19], v[2:3]
	v_fma_f64 v[18:19], v[219:220], s[18:19], -v[72:73]
	v_add_f64_e32 v[16:17], v[18:19], v[16:17]
	v_fma_f64 v[18:19], v[229:230], s[30:31], v[74:75]
	s_delay_alu instid0(VALU_DEP_2) | instskip(NEXT) | instid1(VALU_DEP_2)
	v_add_f64_e32 v[148:149], v[20:21], v[16:17]
	v_add_f64_e32 v[150:151], v[18:19], v[2:3]
	scratch_load_b64 v[18:19], off, off offset:464 th:TH_LOAD_LU ; 8-byte Folded Reload
	v_mul_f64_e32 v[2:3], s[34:35], v[203:204]
	s_delay_alu instid0(VALU_DEP_1) | instskip(SKIP_2) | instid1(VALU_DEP_2)
	v_fma_f64 v[16:17], v[190:191], s[22:23], -v[2:3]
	v_fma_f64 v[2:3], v[190:191], s[22:23], v[2:3]
	s_wait_loadcnt 0x0
	v_add_f64_e32 v[16:17], v[16:17], v[18:19]
	v_mul_f64_e32 v[18:19], s[34:35], v[22:23]
	scratch_load_b64 v[22:23], off, off offset:456 th:TH_LOAD_LU ; 8-byte Folded Reload
	v_add_f64_e32 v[16:17], v[68:69], v[16:17]
	v_fma_f64 v[20:21], v[188:189], s[22:23], v[18:19]
	v_mul_f64_e32 v[68:69], s[44:45], v[82:83]
	s_delay_alu instid0(VALU_DEP_1) | instskip(SKIP_1) | instid1(VALU_DEP_3)
	v_fma_f64 v[70:71], v[193:194], s[2:3], v[68:69]
	s_wait_loadcnt 0x0
	v_add_f64_e32 v[20:21], v[20:21], v[22:23]
	v_fma_f64 v[22:23], v[205:206], s[8:9], v[30:31]
	s_delay_alu instid0(VALU_DEP_2) | instskip(SKIP_1) | instid1(VALU_DEP_1)
	v_add_f64_e32 v[20:21], v[70:71], v[20:21]
	v_mul_f64_e32 v[70:71], s[38:39], v[225:226]
	v_fma_f64 v[72:73], v[205:206], s[30:31], -v[70:71]
	s_delay_alu instid0(VALU_DEP_1) | instskip(SKIP_1) | instid1(VALU_DEP_1)
	v_add_f64_e32 v[16:17], v[72:73], v[16:17]
	v_mul_f64_e32 v[72:73], s[38:39], v[26:27]
	v_fma_f64 v[74:75], v[199:200], s[30:31], v[72:73]
	s_delay_alu instid0(VALU_DEP_1) | instskip(SKIP_1) | instid1(VALU_DEP_1)
	v_add_f64_e32 v[20:21], v[74:75], v[20:21]
	v_mul_f64_e32 v[74:75], s[26:27], v[233:234]
	v_fma_f64 v[152:153], v[209:210], s[18:19], -v[74:75]
	s_delay_alu instid0(VALU_DEP_1) | instskip(SKIP_1) | instid1(VALU_DEP_1)
	v_add_f64_e32 v[16:17], v[152:153], v[16:17]
	v_fma_f64 v[152:153], v[207:208], s[18:19], v[156:157]
	v_add_f64_e32 v[20:21], v[152:153], v[20:21]
	v_fma_f64 v[152:153], v[217:218], s[8:9], -v[158:159]
	s_delay_alu instid0(VALU_DEP_1) | instskip(SKIP_1) | instid1(VALU_DEP_1)
	v_add_f64_e32 v[16:17], v[152:153], v[16:17]
	v_fma_f64 v[152:153], v[211:212], s[8:9], v[160:161]
	v_add_f64_e32 v[20:21], v[152:153], v[20:21]
	;; [unrolled: 5-line block ×4, first 2 shown]
	scratch_load_b64 v[16:17], off, off offset:448 th:TH_LOAD_LU ; 8-byte Folded Reload
	v_fma_f64 v[20:21], v[227:228], s[16:17], -v[170:171]
	s_wait_loadcnt 0x0
	v_add_f64_e32 v[2:3], v[2:3], v[16:17]
	v_fma_f64 v[16:17], v[188:189], s[22:23], -v[18:19]
	scratch_load_b64 v[18:19], off, off offset:440 th:TH_LOAD_LU ; 8-byte Folded Reload
	s_wait_loadcnt 0x0
	v_add_f64_e32 v[16:17], v[16:17], v[18:19]
	v_fma_f64 v[18:19], v[197:198], s[2:3], v[66:67]
	s_delay_alu instid0(VALU_DEP_1) | instskip(SKIP_1) | instid1(VALU_DEP_1)
	v_add_f64_e32 v[2:3], v[18:19], v[2:3]
	v_fma_f64 v[18:19], v[193:194], s[2:3], -v[68:69]
	v_add_f64_e32 v[16:17], v[18:19], v[16:17]
	v_fma_f64 v[18:19], v[205:206], s[30:31], v[70:71]
	s_delay_alu instid0(VALU_DEP_1) | instskip(SKIP_1) | instid1(VALU_DEP_1)
	v_add_f64_e32 v[2:3], v[18:19], v[2:3]
	v_fma_f64 v[18:19], v[199:200], s[30:31], -v[72:73]
	;; [unrolled: 5-line block ×5, first 2 shown]
	v_add_f64_e32 v[16:17], v[18:19], v[16:17]
	v_fma_f64 v[18:19], v[229:230], s[16:17], v[166:167]
	s_delay_alu instid0(VALU_DEP_2)
	v_add_f64_e32 v[156:157], v[20:21], v[16:17]
	scratch_load_b64 v[16:17], off, off offset:432 th:TH_LOAD_LU ; 8-byte Folded Reload
	v_add_f64_e32 v[158:159], v[18:19], v[2:3]
	scratch_load_b64 v[18:19], off, off offset:424 th:TH_LOAD_LU ; 8-byte Folded Reload
	v_fma_f64 v[2:3], v[190:191], s[18:19], v[46:47]
	v_fma_f64 v[20:21], v[227:228], s[2:3], -v[50:51]
	s_wait_loadcnt 0x1
	s_delay_alu instid0(VALU_DEP_2) | instskip(SKIP_2) | instid1(VALU_DEP_1)
	v_add_f64_e32 v[2:3], v[2:3], v[16:17]
	v_fma_f64 v[16:17], v[188:189], s[18:19], -v[168:169]
	s_wait_loadcnt 0x0
	v_add_f64_e32 v[16:17], v[16:17], v[18:19]
	v_fma_f64 v[18:19], v[197:198], s[28:29], v[178:179]
	s_delay_alu instid0(VALU_DEP_1) | instskip(SKIP_1) | instid1(VALU_DEP_1)
	v_add_f64_e32 v[2:3], v[18:19], v[2:3]
	v_fma_f64 v[18:19], v[193:194], s[28:29], -v[180:181]
	v_add_f64_e32 v[16:17], v[18:19], v[16:17]
	v_fma_f64 v[18:19], v[205:206], s[36:37], v[182:183]
	s_delay_alu instid0(VALU_DEP_1) | instskip(SKIP_1) | instid1(VALU_DEP_1)
	v_add_f64_e32 v[2:3], v[18:19], v[2:3]
	v_fma_f64 v[18:19], v[199:200], s[36:37], -v[184:185]
	;; [unrolled: 5-line block ×5, first 2 shown]
	v_add_f64_e32 v[16:17], v[18:19], v[16:17]
	v_fma_f64 v[18:19], v[229:230], s[2:3], v[64:65]
	s_delay_alu instid0(VALU_DEP_2)
	v_add_f64_e32 v[160:161], v[20:21], v[16:17]
	scratch_load_b64 v[20:21], off, off offset:416 th:TH_LOAD_LU ; 8-byte Folded Reload
	v_add_f64_e32 v[162:163], v[18:19], v[2:3]
	v_fma_f64 v[2:3], v[190:191], s[2:3], v[84:85]
	v_fma_f64 v[16:17], v[188:189], s[2:3], -v[100:101]
	v_fma_f64 v[18:19], v[197:198], s[30:31], v[102:103]
	s_delay_alu instid0(VALU_DEP_2) | instskip(SKIP_1) | instid1(VALU_DEP_4)
	v_add_f64_e32 v[16:17], v[16:17], v[106:107]
	s_wait_loadcnt 0x0
	v_add_f64_e32 v[2:3], v[2:3], v[20:21]
	v_fma_f64 v[20:21], v[193:194], s[30:31], -v[104:105]
	s_delay_alu instid0(VALU_DEP_2) | instskip(SKIP_1) | instid1(VALU_DEP_3)
	v_add_f64_e32 v[2:3], v[18:19], v[2:3]
	v_fma_f64 v[18:19], v[199:200], s[8:9], -v[221:222]
	v_add_f64_e32 v[16:17], v[20:21], v[16:17]
	v_fma_f64 v[20:21], v[209:210], s[28:29], v[32:33]
	s_delay_alu instid0(VALU_DEP_4) | instskip(SKIP_1) | instid1(VALU_DEP_4)
	v_add_f64_e32 v[2:3], v[22:23], v[2:3]
	v_fma_f64 v[22:23], v[207:208], s[28:29], -v[34:35]
	v_add_f64_e32 v[16:17], v[18:19], v[16:17]
	v_fma_f64 v[18:19], v[217:218], s[16:17], v[231:232]
	v_dual_mov_b32 v32, v78 :: v_dual_mov_b32 v33, v79
	v_dual_mov_b32 v34, v80 :: v_dual_mov_b32 v35, v81
	v_add_f64_e32 v[2:3], v[20:21], v[2:3]
	v_fma_f64 v[20:21], v[211:212], s[16:17], -v[237:238]
	v_add_f64_e32 v[16:17], v[22:23], v[16:17]
	s_delay_alu instid0(VALU_DEP_3) | instskip(SKIP_1) | instid1(VALU_DEP_3)
	v_add_f64_e32 v[2:3], v[18:19], v[2:3]
	v_fma_f64 v[18:19], v[219:220], s[22:23], -v[44:45]
	v_add_f64_e32 v[16:17], v[20:21], v[16:17]
	v_fma_f64 v[20:21], v[229:230], s[18:19], v[96:97]
	s_delay_alu instid0(VALU_DEP_4) | instskip(SKIP_1) | instid1(VALU_DEP_4)
	v_add_f64_e32 v[0:1], v[0:1], v[2:3]
	v_fma_f64 v[2:3], v[227:228], s[18:19], -v[48:49]
	v_add_f64_e32 v[16:17], v[18:19], v[16:17]
	s_delay_alu instid0(VALU_DEP_3) | instskip(SKIP_1) | instid1(VALU_DEP_3)
	v_add_f64_e32 v[166:167], v[20:21], v[0:1]
	v_mul_lo_u16 v0, v243, 17
	v_add_f64_e32 v[164:165], v[2:3], v[16:17]
	s_delay_alu instid0(VALU_DEP_2) | instskip(NEXT) | instid1(VALU_DEP_1)
	v_and_b32_e32 v0, 0xffff, v0
	v_lshl_add_u32 v0, v0, 4, v244
	ds_store_b128 v0, v[174:177]
	ds_store_b128 v0, v[12:15] offset:16
	ds_store_b128 v0, v[120:123] offset:32
	;; [unrolled: 1-line block ×16, first 2 shown]
.LBB0_17:
	s_wait_alu 0xfffe
	s_or_b32 exec_lo, exec_lo, s1
	global_wb scope:SCOPE_SE
	s_wait_storecnt_dscnt 0x0
	s_barrier_signal -1
	s_barrier_wait -1
	global_inv scope:SCOPE_SE
	ds_load_b128 v[116:119], v254
	ds_load_b128 v[120:123], v254 offset:544
	ds_load_b128 v[148:151], v254 offset:4624
	;; [unrolled: 1-line block ×13, first 2 shown]
	s_and_saveexec_b32 s1, s0
	s_cbranch_execz .LBB0_19
; %bb.18:
	ds_load_b128 v[140:143], v254 offset:3808
	ds_load_b128 v[132:135], v254 offset:7888
.LBB0_19:
	s_wait_alu 0xfffe
	s_or_b32 exec_lo, exec_lo, s1
	s_clause 0x1
	scratch_load_b128 v[44:47], off, off offset:4 th:TH_LOAD_LU
	scratch_load_b128 v[50:53], off, off offset:36 th:TH_LOAD_LU
	s_wait_dscnt 0xb
	v_mul_f64_e32 v[10:11], v[34:35], v[148:149]
	v_mul_f64_e32 v[8:9], v[34:35], v[150:151]
	s_delay_alu instid0(VALU_DEP_2) | instskip(NEXT) | instid1(VALU_DEP_2)
	v_fma_f64 v[10:11], v[32:33], v[150:151], -v[10:11]
	v_fma_f64 v[8:9], v[32:33], v[148:149], v[8:9]
	s_delay_alu instid0(VALU_DEP_2) | instskip(NEXT) | instid1(VALU_DEP_2)
	v_add_f64_e64 v[10:11], v[122:123], -v[10:11]
	v_add_f64_e64 v[8:9], v[120:121], -v[8:9]
	s_wait_loadcnt_dscnt 0x103
	v_mul_f64_e32 v[4:5], v[46:47], v[174:175]
	s_wait_loadcnt 0x0
	v_mul_f64_e32 v[12:13], v[52:53], v[154:155]
	v_mul_f64_e32 v[14:15], v[52:53], v[152:153]
	scratch_load_b128 v[52:55], off, off offset:52 th:TH_LOAD_LU ; 16-byte Folded Reload
	v_mul_f64_e32 v[6:7], v[46:47], v[172:173]
	scratch_load_b128 v[46:49], off, off offset:20 th:TH_LOAD_LU ; 16-byte Folded Reload
	v_fma_f64 v[4:5], v[44:45], v[172:173], v[4:5]
	v_fma_f64 v[12:13], v[50:51], v[152:153], v[12:13]
	v_fma_f64 v[14:15], v[50:51], v[154:155], -v[14:15]
	v_fma_f64 v[6:7], v[44:45], v[174:175], -v[6:7]
	s_delay_alu instid0(VALU_DEP_4) | instskip(NEXT) | instid1(VALU_DEP_4)
	v_add_f64_e64 v[4:5], v[116:117], -v[4:5]
	v_add_f64_e64 v[12:13], v[128:129], -v[12:13]
	s_delay_alu instid0(VALU_DEP_4) | instskip(NEXT) | instid1(VALU_DEP_4)
	v_add_f64_e64 v[14:15], v[130:131], -v[14:15]
	v_add_f64_e64 v[6:7], v[118:119], -v[6:7]
	s_delay_alu instid0(VALU_DEP_4) | instskip(SKIP_2) | instid1(VALU_DEP_4)
	v_fma_f64 v[32:33], v[116:117], 2.0, -v[4:5]
	v_fma_f64 v[116:117], v[120:121], 2.0, -v[8:9]
	;; [unrolled: 1-line block ×6, first 2 shown]
	s_wait_loadcnt 0x1
	v_mul_f64_e32 v[16:17], v[54:55], v[158:159]
	v_mul_f64_e32 v[18:19], v[54:55], v[156:157]
	scratch_load_b128 v[54:57], off, off offset:68 th:TH_LOAD_LU ; 16-byte Folded Reload
	s_wait_loadcnt_dscnt 0x101
	v_mul_f64_e32 v[24:25], v[48:49], v[170:171]
	v_mul_f64_e32 v[26:27], v[48:49], v[168:169]
	v_fma_f64 v[16:17], v[52:53], v[156:157], v[16:17]
	v_fma_f64 v[18:19], v[52:53], v[158:159], -v[18:19]
	s_delay_alu instid0(VALU_DEP_4) | instskip(NEXT) | instid1(VALU_DEP_4)
	v_fma_f64 v[24:25], v[46:47], v[168:169], v[24:25]
	v_fma_f64 v[26:27], v[46:47], v[170:171], -v[26:27]
	s_delay_alu instid0(VALU_DEP_4) | instskip(NEXT) | instid1(VALU_DEP_4)
	v_add_f64_e64 v[16:17], v[124:125], -v[16:17]
	v_add_f64_e64 v[18:19], v[126:127], -v[18:19]
	s_delay_alu instid0(VALU_DEP_4) | instskip(NEXT) | instid1(VALU_DEP_4)
	v_add_f64_e64 v[24:25], v[136:137], -v[24:25]
	v_add_f64_e64 v[26:27], v[138:139], -v[26:27]
	s_delay_alu instid0(VALU_DEP_4) | instskip(NEXT) | instid1(VALU_DEP_4)
	v_fma_f64 v[124:125], v[124:125], 2.0, -v[16:17]
	v_fma_f64 v[126:127], v[126:127], 2.0, -v[18:19]
	s_delay_alu instid0(VALU_DEP_4) | instskip(NEXT) | instid1(VALU_DEP_4)
	v_fma_f64 v[136:137], v[136:137], 2.0, -v[24:25]
	v_fma_f64 v[138:139], v[138:139], 2.0, -v[26:27]
	s_wait_loadcnt 0x0
	v_mul_f64_e32 v[20:21], v[56:57], v[162:163]
	v_mul_f64_e32 v[22:23], v[56:57], v[160:161]
	scratch_load_b128 v[56:59], off, off offset:84 th:TH_LOAD_LU ; 16-byte Folded Reload
	global_wb scope:SCOPE_SE
	s_wait_loadcnt_dscnt 0x0
	s_barrier_signal -1
	s_barrier_wait -1
	global_inv scope:SCOPE_SE
	v_fma_f64 v[20:21], v[54:55], v[160:161], v[20:21]
	v_fma_f64 v[22:23], v[54:55], v[162:163], -v[22:23]
	s_delay_alu instid0(VALU_DEP_2) | instskip(NEXT) | instid1(VALU_DEP_2)
	v_add_f64_e64 v[20:21], v[144:145], -v[20:21]
	v_add_f64_e64 v[22:23], v[146:147], -v[22:23]
	s_delay_alu instid0(VALU_DEP_2) | instskip(NEXT) | instid1(VALU_DEP_2)
	v_fma_f64 v[128:129], v[144:145], 2.0, -v[20:21]
	v_fma_f64 v[130:131], v[146:147], 2.0, -v[22:23]
	v_mul_f64_e32 v[30:31], v[58:59], v[164:165]
	v_mul_f64_e32 v[28:29], v[58:59], v[166:167]
	s_delay_alu instid0(VALU_DEP_2) | instskip(NEXT) | instid1(VALU_DEP_2)
	v_fma_f64 v[30:31], v[56:57], v[166:167], -v[30:31]
	v_fma_f64 v[28:29], v[56:57], v[164:165], v[28:29]
	s_delay_alu instid0(VALU_DEP_2) | instskip(NEXT) | instid1(VALU_DEP_2)
	v_add_f64_e64 v[30:31], v[2:3], -v[30:31]
	v_add_f64_e64 v[28:29], v[0:1], -v[28:29]
	s_delay_alu instid0(VALU_DEP_2)
	v_fma_f64 v[146:147], v[2:3], 2.0, -v[30:31]
	scratch_load_b32 v2, off, off offset:100 th:TH_LOAD_LU ; 4-byte Folded Reload
	v_fma_f64 v[144:145], v[0:1], 2.0, -v[28:29]
	v_add_nc_u32_e32 v1, 0x220, v253
	v_add_nc_u32_e32 v0, 0x440, v253
	s_wait_loadcnt 0x0
	ds_store_b128 v2, v[32:35]
	ds_store_b128 v2, v[4:7] offset:272
	scratch_load_b32 v2, off, off offset:124 th:TH_LOAD_LU ; 4-byte Folded Reload
	s_wait_loadcnt 0x0
	ds_store_b128 v2, v[116:119]
	ds_store_b128 v2, v[8:11] offset:272
	scratch_load_b32 v2, off, off offset:120 th:TH_LOAD_LU ; 4-byte Folded Reload
	;; [unrolled: 4-line block ×6, first 2 shown]
	s_wait_loadcnt 0x0
	ds_store_b128 v2, v[144:147]
	ds_store_b128 v2, v[28:31] offset:272
	s_and_saveexec_b32 s1, s0
	s_cbranch_execz .LBB0_21
; %bb.20:
	s_clause 0x1
	scratch_load_b128 v[6:9], off, off offset:400 th:TH_LOAD_LU
	scratch_load_b32 v10, off, off th:TH_LOAD_LU
	s_wait_loadcnt 0x1
	v_mul_f64_e32 v[2:3], v[8:9], v[132:133]
	v_mul_f64_e32 v[4:5], v[8:9], v[134:135]
	s_wait_loadcnt 0x0
	v_lshl_add_u32 v10, v10, 4, v244
	s_delay_alu instid0(VALU_DEP_3) | instskip(NEXT) | instid1(VALU_DEP_3)
	v_fma_f64 v[2:3], v[6:7], v[134:135], -v[2:3]
	v_fma_f64 v[6:7], v[6:7], v[132:133], v[4:5]
	s_delay_alu instid0(VALU_DEP_2) | instskip(NEXT) | instid1(VALU_DEP_2)
	v_add_f64_e64 v[4:5], v[142:143], -v[2:3]
	v_add_f64_e64 v[2:3], v[140:141], -v[6:7]
	s_delay_alu instid0(VALU_DEP_2) | instskip(NEXT) | instid1(VALU_DEP_2)
	v_fma_f64 v[8:9], v[142:143], 2.0, -v[4:5]
	v_fma_f64 v[6:7], v[140:141], 2.0, -v[2:3]
	ds_store_b128 v10, v[6:9] offset:7616
	ds_store_b128 v10, v[2:5] offset:7888
.LBB0_21:
	s_wait_alu 0xfffe
	s_or_b32 exec_lo, exec_lo, s1
	global_wb scope:SCOPE_SE
	s_wait_dscnt 0x0
	s_barrier_signal -1
	s_barrier_wait -1
	global_inv scope:SCOPE_SE
	ds_load_b128 v[2:5], v254 offset:2720
	ds_load_b128 v[6:9], v254 offset:5440
	;; [unrolled: 1-line block ×11, first 2 shown]
	s_clause 0x1
	scratch_load_b128 v[76:79], off, off offset:128 th:TH_LOAD_LU
	scratch_load_b128 v[130:133], off, off offset:176 th:TH_LOAD_LU
	s_mov_b32 s0, 0xe8584caa
	s_mov_b32 s1, 0xbfebb67a
	;; [unrolled: 1-line block ×3, first 2 shown]
	s_wait_alu 0xfffe
	s_mov_b32 s2, s0
	s_mov_b32 s8, 0x134454ff
	s_mov_b32 s9, 0xbfee6f0e
	s_mov_b32 s11, 0x3fee6f0e
	s_wait_dscnt 0xa
	v_mul_f64_e32 v[34:35], v[42:43], v[4:5]
	v_mul_f64_e32 v[44:45], v[42:43], v[2:3]
	s_wait_dscnt 0x9
	v_mul_f64_e32 v[46:47], v[38:39], v[8:9]
	v_mul_f64_e32 v[48:49], v[38:39], v[6:7]
	;; [unrolled: 3-line block ×4, first 2 shown]
	s_wait_alu 0xfffe
	s_mov_b32 s10, s8
	scratch_load_b128 v[136:139], off, off offset:208 th:TH_LOAD_LU ; 16-byte Folded Reload
	v_fma_f64 v[34:35], v[40:41], v[2:3], v[34:35]
	v_fma_f64 v[44:45], v[40:41], v[4:5], -v[44:45]
	v_fma_f64 v[46:47], v[36:37], v[6:7], v[46:47]
	v_fma_f64 v[48:49], v[36:37], v[8:9], -v[48:49]
	;; [unrolled: 2-line block ×4, first 2 shown]
	ds_load_b128 v[2:5], v254
	ds_load_b128 v[6:9], v254 offset:544
	s_wait_loadcnt_dscnt 0x208
	v_mul_f64_e32 v[54:55], v[78:79], v[20:21]
	v_mul_f64_e32 v[56:57], v[78:79], v[18:19]
	scratch_load_b128 v[78:81], off, off offset:144 th:TH_LOAD_LU ; 16-byte Folded Reload
	s_wait_loadcnt_dscnt 0x205
	v_mul_f64_e32 v[64:65], v[132:133], v[32:33]
	v_mul_f64_e32 v[68:69], v[132:133], v[30:31]
	scratch_load_b128 v[132:135], off, off offset:192 th:TH_LOAD_LU ; 16-byte Folded Reload
	s_wait_loadcnt_dscnt 0x203
	v_mul_f64_e32 v[72:73], v[138:139], v[122:123]
	v_mul_f64_e32 v[128:129], v[138:139], v[120:121]
	v_fma_f64 v[18:19], v[76:77], v[18:19], v[54:55]
	v_fma_f64 v[20:21], v[76:77], v[20:21], -v[56:57]
	v_fma_f64 v[30:31], v[130:131], v[30:31], v[64:65]
	v_fma_f64 v[32:33], v[130:131], v[32:33], -v[68:69]
	v_add_f64_e32 v[64:65], v[40:41], v[36:37]
	v_fma_f64 v[52:53], v[136:137], v[120:121], v[72:73]
	v_add_f64_e64 v[120:121], v[44:45], -v[48:49]
	v_fma_f64 v[56:57], v[136:137], v[122:123], -v[128:129]
	s_wait_dscnt 0x0
	v_add_f64_e32 v[122:123], v[6:7], v[50:51]
	v_add_f64_e32 v[128:129], v[8:9], v[40:41]
	v_add_f64_e64 v[40:41], v[40:41], -v[36:37]
	v_fma_f64 v[64:65], v[64:65], -0.5, v[8:9]
	s_delay_alu instid0(VALU_DEP_3)
	v_add_f64_e32 v[8:9], v[128:129], v[36:37]
	s_wait_loadcnt 0x1
	v_mul_f64_e32 v[58:59], v[80:81], v[24:25]
	v_mul_f64_e32 v[60:61], v[80:81], v[22:23]
	scratch_load_b128 v[80:83], off, off offset:160 th:TH_LOAD_LU ; 16-byte Folded Reload
	s_wait_loadcnt 0x1
	v_mul_f64_e32 v[74:75], v[134:135], v[116:117]
	v_mul_f64_e32 v[70:71], v[134:135], v[118:119]
	ds_load_b128 v[10:13], v254 offset:1088
	ds_load_b128 v[14:17], v254 offset:1632
	global_wb scope:SCOPE_SE
	s_wait_loadcnt_dscnt 0x0
	s_barrier_signal -1
	s_barrier_wait -1
	global_inv scope:SCOPE_SE
	v_add_f64_e32 v[130:131], v[10:11], v[18:19]
	v_fma_f64 v[22:23], v[78:79], v[22:23], v[58:59]
	v_fma_f64 v[24:25], v[78:79], v[24:25], -v[60:61]
	v_add_f64_e32 v[58:59], v[34:35], v[46:47]
	v_add_f64_e32 v[60:61], v[44:45], v[48:49]
	v_fma_f64 v[54:55], v[132:133], v[118:119], -v[74:75]
	v_add_f64_e32 v[118:119], v[2:3], v[34:35]
	v_add_f64_e32 v[44:45], v[4:5], v[44:45]
	v_fma_f64 v[38:39], v[132:133], v[116:117], v[70:71]
	v_add_f64_e32 v[132:133], v[12:13], v[20:21]
	v_add_f64_e64 v[34:35], v[34:35], -v[46:47]
	v_add_f64_e64 v[144:145], v[18:19], -v[22:23]
	v_add_f64_e32 v[68:69], v[20:21], v[24:25]
	v_fma_f64 v[58:59], v[58:59], -0.5, v[2:3]
	v_fma_f64 v[60:61], v[60:61], -0.5, v[4:5]
	v_add_f64_e64 v[142:143], v[20:21], -v[24:25]
	v_add_f64_e32 v[2:3], v[118:119], v[46:47]
	v_add_f64_e32 v[4:5], v[44:45], v[48:49]
	;; [unrolled: 1-line block ×6, first 2 shown]
	v_add_f64_e64 v[150:151], v[54:55], -v[56:57]
	v_fma_f64 v[68:69], v[68:69], -0.5, v[12:13]
	v_add_f64_e32 v[12:13], v[132:133], v[24:25]
	v_fma_f64 v[24:25], v[34:35], s[2:3], v[60:61]
	v_fma_f64 v[74:75], v[74:75], -0.5, v[124:125]
	v_add_f64_e64 v[124:125], v[38:39], -v[52:53]
	v_fma_f64 v[116:117], v[116:117], -0.5, v[126:127]
	v_add_f64_e32 v[20:21], v[140:141], v[56:57]
	v_fma_f64 v[44:45], v[144:145], s[0:1], v[68:69]
	v_fma_f64 v[54:55], v[150:151], s[0:1], v[74:75]
	s_delay_alu instid0(VALU_DEP_4) | instskip(SKIP_2) | instid1(VALU_DEP_2)
	v_fma_f64 v[56:57], v[124:125], s[2:3], v[116:117]
	v_mul_f64_e32 v[62:63], v[82:83], v[28:29]
	v_mul_f64_e32 v[66:67], v[82:83], v[26:27]
	v_fma_f64 v[26:27], v[80:81], v[26:27], v[62:63]
	s_delay_alu instid0(VALU_DEP_2)
	v_fma_f64 v[28:29], v[80:81], v[28:29], -v[66:67]
	v_add_f64_e32 v[62:63], v[50:51], v[42:43]
	v_add_f64_e32 v[66:67], v[18:19], v[22:23]
	v_add_f64_e64 v[50:51], v[50:51], -v[42:43]
	v_add_f64_e32 v[18:19], v[138:139], v[52:53]
	v_add_f64_e32 v[70:71], v[26:27], v[30:31]
	;; [unrolled: 1-line block ×5, first 2 shown]
	v_fma_f64 v[62:63], v[62:63], -0.5, v[6:7]
	v_fma_f64 v[66:67], v[66:67], -0.5, v[10:11]
	v_add_f64_e32 v[10:11], v[130:131], v[22:23]
	v_fma_f64 v[22:23], v[120:121], s[0:1], v[58:59]
	v_add_f64_e64 v[146:147], v[28:29], -v[32:33]
	v_add_f64_e64 v[148:149], v[26:27], -v[30:31]
	v_fma_f64 v[26:27], v[120:121], s[2:3], v[58:59]
	v_fma_f64 v[28:29], v[34:35], s[0:1], v[60:61]
	v_add_f64_e32 v[6:7], v[122:123], v[42:43]
	v_fma_f64 v[36:37], v[50:51], s[0:1], v[64:65]
	v_fma_f64 v[58:59], v[150:151], s[2:3], v[74:75]
	;; [unrolled: 1-line block ×3, first 2 shown]
	v_fma_f64 v[70:71], v[70:71], -0.5, v[14:15]
	v_fma_f64 v[72:73], v[72:73], -0.5, v[16:17]
	v_add_f64_e32 v[14:15], v[134:135], v[30:31]
	v_add_f64_e32 v[16:17], v[136:137], v[32:33]
	v_fma_f64 v[30:31], v[40:41], s[0:1], v[62:63]
	v_fma_f64 v[32:33], v[50:51], s[2:3], v[64:65]
	;; [unrolled: 1-line block ×3, first 2 shown]
	ds_store_b128 v254, v[2:5]
	ds_store_b128 v254, v[22:25] offset:544
	ds_store_b128 v254, v[26:29] offset:1088
	;; [unrolled: 1-line block ×5, first 2 shown]
	scratch_load_b32 v2, off, off offset:296 th:TH_LOAD_LU ; 4-byte Folded Reload
	v_fma_f64 v[38:39], v[142:143], s[0:1], v[66:67]
	v_fma_f64 v[40:41], v[144:145], s[2:3], v[68:69]
	v_fma_f64 v[42:43], v[142:143], s[2:3], v[66:67]
	v_fma_f64 v[46:47], v[146:147], s[0:1], v[70:71]
	v_fma_f64 v[48:49], v[148:149], s[2:3], v[72:73]
	v_fma_f64 v[50:51], v[146:147], s[2:3], v[70:71]
	v_fma_f64 v[52:53], v[148:149], s[0:1], v[72:73]
	s_mov_b32 s0, 0x4755a5e
	s_mov_b32 s1, 0xbfe2cf23
	;; [unrolled: 1-line block ×3, first 2 shown]
	s_wait_alu 0xfffe
	s_mov_b32 s2, s0
	s_wait_loadcnt 0x0
	ds_store_b128 v2, v[10:13] offset:3264
	ds_store_b128 v2, v[38:41] offset:3808
	;; [unrolled: 1-line block ×3, first 2 shown]
	scratch_load_b32 v2, off, off offset:292 th:TH_LOAD_LU ; 4-byte Folded Reload
	s_wait_loadcnt 0x0
	ds_store_b128 v2, v[14:17] offset:4896
	ds_store_b128 v2, v[46:49] offset:5440
	;; [unrolled: 1-line block ×3, first 2 shown]
	scratch_load_b32 v2, off, off offset:288 th:TH_LOAD_LU ; 4-byte Folded Reload
	s_wait_loadcnt 0x0
	ds_store_b128 v2, v[18:21] offset:6528
	ds_store_b128 v2, v[54:57] offset:7072
	;; [unrolled: 1-line block ×3, first 2 shown]
	global_wb scope:SCOPE_SE
	s_wait_dscnt 0x0
	s_barrier_signal -1
	s_barrier_wait -1
	global_inv scope:SCOPE_SE
	ds_load_b128 v[2:5], v254 offset:1632
	ds_load_b128 v[6:9], v254 offset:3264
	;; [unrolled: 1-line block ×13, first 2 shown]
	s_clause 0x9
	scratch_load_b128 v[76:79], off, off offset:224 th:TH_LOAD_LU
	scratch_load_b128 v[80:83], off, off offset:240 th:TH_LOAD_LU
	;; [unrolled: 1-line block ×10, first 2 shown]
	s_wait_dscnt 0x1
	v_mul_f64_e32 v[118:119], v[110:111], v[48:49]
	v_mul_f64_e32 v[110:111], v[110:111], v[46:47]
	s_wait_dscnt 0x0
	v_mul_f64_e32 v[120:121], v[114:115], v[52:53]
	v_mul_f64_e32 v[114:115], v[114:115], v[50:51]
	s_delay_alu instid0(VALU_DEP_4) | instskip(NEXT) | instid1(VALU_DEP_4)
	v_fma_f64 v[46:47], v[108:109], v[46:47], v[118:119]
	v_fma_f64 v[48:49], v[108:109], v[48:49], -v[110:111]
	s_delay_alu instid0(VALU_DEP_4) | instskip(NEXT) | instid1(VALU_DEP_4)
	v_fma_f64 v[50:51], v[112:113], v[50:51], v[120:121]
	v_fma_f64 v[52:53], v[112:113], v[52:53], -v[114:115]
	s_delay_alu instid0(VALU_DEP_1)
	v_add_f64_e64 v[144:145], v[48:49], -v[52:53]
	v_add_f64_e64 v[142:143], v[52:53], -v[48:49]
	s_wait_loadcnt 0x9
	v_mul_f64_e32 v[54:55], v[78:79], v[4:5]
	v_mul_f64_e32 v[56:57], v[78:79], v[2:3]
	s_wait_loadcnt 0x8
	v_mul_f64_e32 v[58:59], v[82:83], v[8:9]
	s_wait_loadcnt 0x7
	v_mul_f64_e32 v[60:61], v[124:125], v[12:13]
	v_mul_f64_e32 v[62:63], v[82:83], v[6:7]
	s_wait_loadcnt 0x6
	v_mul_f64_e32 v[64:65], v[128:129], v[16:17]
	v_mul_f64_e32 v[66:67], v[128:129], v[14:15]
	;; [unrolled: 1-line block ×3, first 2 shown]
	s_wait_loadcnt 0x4
	v_mul_f64_e32 v[74:75], v[90:91], v[24:25]
	s_wait_loadcnt 0x3
	v_mul_f64_e32 v[78:79], v[94:95], v[28:29]
	v_mul_f64_e32 v[82:83], v[90:91], v[22:23]
	;; [unrolled: 1-line block ×5, first 2 shown]
	s_wait_loadcnt 0x2
	v_mul_f64_e32 v[86:87], v[98:99], v[32:33]
	v_mul_f64_e32 v[94:95], v[98:99], v[30:31]
	s_wait_loadcnt 0x0
	v_mul_f64_e32 v[116:117], v[106:107], v[44:45]
	v_mul_f64_e32 v[106:107], v[106:107], v[42:43]
	;; [unrolled: 1-line block ×4, first 2 shown]
	v_fma_f64 v[54:55], v[76:77], v[2:3], v[54:55]
	v_fma_f64 v[56:57], v[76:77], v[4:5], -v[56:57]
	v_fma_f64 v[58:59], v[80:81], v[6:7], v[58:59]
	v_fma_f64 v[10:11], v[122:123], v[10:11], v[60:61]
	v_fma_f64 v[60:61], v[80:81], v[8:9], -v[62:63]
	v_fma_f64 v[14:15], v[126:127], v[14:15], v[64:65]
	v_fma_f64 v[16:17], v[126:127], v[16:17], -v[66:67]
	v_fma_f64 v[12:13], v[122:123], v[12:13], -v[68:69]
	v_fma_f64 v[22:23], v[88:89], v[22:23], v[74:75]
	v_fma_f64 v[26:27], v[92:93], v[26:27], v[78:79]
	v_fma_f64 v[24:25], v[88:89], v[24:25], -v[82:83]
	v_fma_f64 v[28:29], v[92:93], v[28:29], -v[90:91]
	v_fma_f64 v[18:19], v[84:85], v[18:19], v[70:71]
	v_fma_f64 v[20:21], v[84:85], v[20:21], -v[72:73]
	v_fma_f64 v[30:31], v[96:97], v[30:31], v[86:87]
	;; [unrolled: 2-line block ×4, first 2 shown]
	v_fma_f64 v[40:41], v[100:101], v[40:41], -v[102:103]
	ds_load_b128 v[2:5], v254
	ds_load_b128 v[6:9], v254 offset:544
	s_wait_dscnt 0x1
	v_add_f64_e32 v[64:65], v[2:3], v[54:55]
	v_add_f64_e32 v[62:63], v[58:59], v[10:11]
	;; [unrolled: 1-line block ×6, first 2 shown]
	v_add_f64_e64 v[72:73], v[60:61], -v[12:13]
	v_add_f64_e32 v[78:79], v[22:23], v[26:27]
	v_add_f64_e64 v[76:77], v[54:55], -v[58:59]
	v_add_f64_e32 v[86:87], v[24:25], v[28:29]
	s_wait_dscnt 0x0
	v_add_f64_e32 v[110:111], v[6:7], v[18:19]
	v_add_f64_e32 v[124:125], v[8:9], v[20:21]
	;; [unrolled: 1-line block ×8, first 2 shown]
	v_add_f64_e64 v[80:81], v[14:15], -v[10:11]
	v_add_f64_e64 v[84:85], v[58:59], -v[54:55]
	;; [unrolled: 1-line block ×6, first 2 shown]
	v_add_f64_e32 v[128:129], v[34:35], v[38:39]
	v_add_f64_e32 v[130:131], v[36:37], v[40:41]
	v_add_f64_e64 v[68:69], v[56:57], -v[16:17]
	v_add_f64_e64 v[54:55], v[54:55], -v[14:15]
	v_add_f64_e64 v[112:113], v[20:21], -v[32:33]
	v_add_f64_e64 v[116:117], v[18:19], -v[22:23]
	v_add_f64_e64 v[120:121], v[22:23], -v[18:19]
	v_add_f64_e64 v[18:19], v[18:19], -v[30:31]
	v_add_f64_e64 v[56:57], v[60:61], -v[56:57]
	v_add_f64_e64 v[108:109], v[12:13], -v[16:17]
	v_add_f64_e64 v[114:115], v[24:25], -v[28:29]
	v_add_f64_e64 v[126:127], v[22:23], -v[26:27]
	v_add_f64_e64 v[134:135], v[40:41], -v[52:53]
	v_add_f64_e64 v[138:139], v[38:39], -v[50:51]
	v_add_f64_e32 v[58:59], v[64:65], v[58:59]
	v_fma_f64 v[62:63], v[62:63], -0.5, v[2:3]
	v_add_f64_e32 v[60:61], v[92:93], v[60:61]
	v_fma_f64 v[2:3], v[66:67], -0.5, v[2:3]
	v_add_f64_e64 v[132:133], v[20:21], -v[24:25]
	v_fma_f64 v[70:71], v[70:71], -0.5, v[4:5]
	v_fma_f64 v[4:5], v[74:75], -0.5, v[4:5]
	;; [unrolled: 1-line block ×3, first 2 shown]
	v_add_f64_e64 v[20:21], v[24:25], -v[20:21]
	v_fma_f64 v[86:87], v[86:87], -0.5, v[8:9]
	v_add_f64_e64 v[74:75], v[28:29], -v[32:33]
	v_add_f64_e32 v[22:23], v[110:111], v[22:23]
	v_fma_f64 v[6:7], v[82:83], -0.5, v[6:7]
	v_fma_f64 v[8:9], v[90:91], -0.5, v[8:9]
	;; [unrolled: 1-line block ×4, first 2 shown]
	v_add_f64_e64 v[82:83], v[44:45], -v[48:49]
	v_fma_f64 v[34:35], v[96:97], -0.5, v[34:35]
	v_add_f64_e64 v[96:97], v[42:43], -v[46:47]
	v_fma_f64 v[36:37], v[102:103], -0.5, v[36:37]
	v_add_f64_e32 v[24:25], v[124:125], v[24:25]
	v_add_f64_e64 v[118:119], v[30:31], -v[26:27]
	v_add_f64_e64 v[122:123], v[26:27], -v[30:31]
	;; [unrolled: 1-line block ×6, first 2 shown]
	v_add_f64_e32 v[64:65], v[76:77], v[80:81]
	v_add_f64_e32 v[76:77], v[84:85], v[88:89]
	v_add_f64_e32 v[80:81], v[104:105], v[106:107]
	v_add_f64_e32 v[42:43], v[128:129], v[42:43]
	v_add_f64_e32 v[44:45], v[130:131], v[44:45]
	v_add_f64_e64 v[102:103], v[46:47], -v[50:51]
	v_add_f64_e64 v[66:67], v[32:33], -v[28:29]
	v_add_f64_e32 v[56:57], v[56:57], v[108:109]
	v_add_f64_e64 v[90:91], v[50:51], -v[46:47]
	v_add_f64_e32 v[10:11], v[58:59], v[10:11]
	v_fma_f64 v[84:85], v[68:69], s[8:9], v[62:63]
	v_fma_f64 v[62:63], v[68:69], s[10:11], v[62:63]
	;; [unrolled: 1-line block ×24, first 2 shown]
	v_add_f64_e32 v[12:13], v[60:61], v[12:13]
	v_add_f64_e32 v[74:75], v[20:21], v[74:75]
	;; [unrolled: 1-line block ×13, first 2 shown]
	v_fma_f64 v[28:29], v[72:73], s[0:1], v[84:85]
	s_wait_alu 0xfffe
	v_fma_f64 v[38:39], v[72:73], s[2:3], v[62:63]
	v_fma_f64 v[40:41], v[68:69], s[0:1], v[88:89]
	;; [unrolled: 1-line block ×23, first 2 shown]
	s_mov_b32 s0, 0x372fe950
	s_mov_b32 s1, 0x3fd3c6ef
	v_add_f64_e32 v[2:3], v[10:11], v[14:15]
	v_add_f64_e32 v[4:5], v[12:13], v[16:17]
	v_add_f64_e32 v[6:7], v[20:21], v[30:31]
	v_add_f64_e32 v[8:9], v[22:23], v[32:33]
	v_add_f64_e32 v[10:11], v[24:25], v[50:51]
	v_add_f64_e32 v[12:13], v[26:27], v[52:53]
	s_wait_alu 0xfffe
	v_fma_f64 v[14:15], v[64:65], s[0:1], v[28:29]
	v_fma_f64 v[18:19], v[64:65], s[0:1], v[38:39]
	;; [unrolled: 1-line block ×24, first 2 shown]
	ds_store_b128 v253, v[2:5]
	ds_store_b128 v253, v[6:9] offset:544
	ds_store_b128 v253, v[22:25] offset:3264
	ds_store_b128 v253, v[26:29] offset:4896
	ds_store_b128 v253, v[18:21] offset:6528
	ds_store_b128 v1, v[30:33] offset:1632
	ds_store_b128 v1, v[38:41] offset:3264
	ds_store_b128 v1, v[42:45] offset:4896
	ds_store_b128 v253, v[14:17] offset:1632
	ds_store_b128 v253, v[10:13] offset:1088
	ds_store_b128 v1, v[34:37] offset:6528
	ds_store_b128 v0, v[46:49] offset:1632
	ds_store_b128 v0, v[54:57] offset:3264
	ds_store_b128 v0, v[58:61] offset:4896
	ds_store_b128 v0, v[50:53] offset:6528
	global_wb scope:SCOPE_SE
	s_wait_dscnt 0x0
	s_barrier_signal -1
	s_barrier_wait -1
	global_inv scope:SCOPE_SE
	s_and_b32 exec_lo, exec_lo, vcc_lo
	s_cbranch_execz .LBB0_23
; %bb.22:
	global_load_b128 v[0:3], v255, s[12:13]
	ds_load_b128 v[4:7], v253
	ds_load_b128 v[8:11], v253 offset:480
	s_mov_b32 s0, 0x10101010
	s_mov_b32 s1, 0x3f601010
	s_mul_u64 s[2:3], s[4:5], 0x1e0
	s_wait_loadcnt_dscnt 0x1
	v_mul_f64_e32 v[12:13], v[6:7], v[2:3]
	v_mul_f64_e32 v[2:3], v[4:5], v[2:3]
	s_delay_alu instid0(VALU_DEP_2) | instskip(NEXT) | instid1(VALU_DEP_2)
	v_fma_f64 v[4:5], v[4:5], v[0:1], v[12:13]
	v_fma_f64 v[0:1], v[0:1], v[6:7], -v[2:3]
	v_mad_co_u64_u32 v[6:7], null, s6, v192, 0
	v_mad_co_u64_u32 v[12:13], null, s4, v243, 0
	s_wait_alu 0xfffe
	s_delay_alu instid0(VALU_DEP_4) | instskip(NEXT) | instid1(VALU_DEP_4)
	v_mul_f64_e32 v[2:3], s[0:1], v[4:5]
	v_mul_f64_e32 v[4:5], s[0:1], v[0:1]
	s_delay_alu instid0(VALU_DEP_3) | instskip(NEXT) | instid1(VALU_DEP_1)
	v_dual_mov_b32 v0, v7 :: v_dual_mov_b32 v1, v13
	v_mad_co_u64_u32 v[13:14], null, s7, v192, v[0:1]
	s_delay_alu instid0(VALU_DEP_1) | instskip(SKIP_1) | instid1(VALU_DEP_1)
	v_mov_b32_e32 v7, v13
	v_mad_co_u64_u32 v[0:1], null, s5, v243, v[1:2]
	v_mov_b32_e32 v13, v0
	s_delay_alu instid0(VALU_DEP_3) | instskip(NEXT) | instid1(VALU_DEP_2)
	v_lshlrev_b64_e32 v[0:1], 4, v[6:7]
	v_lshlrev_b64_e32 v[6:7], 4, v[12:13]
	s_delay_alu instid0(VALU_DEP_2) | instskip(NEXT) | instid1(VALU_DEP_3)
	v_add_co_u32 v0, vcc_lo, s14, v0
	v_add_co_ci_u32_e32 v1, vcc_lo, s15, v1, vcc_lo
	s_delay_alu instid0(VALU_DEP_2) | instskip(SKIP_1) | instid1(VALU_DEP_2)
	v_add_co_u32 v6, vcc_lo, v0, v6
	s_wait_alu 0xfffd
	v_add_co_ci_u32_e32 v7, vcc_lo, v1, v7, vcc_lo
	s_delay_alu instid0(VALU_DEP_2)
	v_add_co_u32 v14, vcc_lo, v6, s2
	global_store_b128 v[6:7], v[2:5], off
	global_load_b128 v[2:5], v255, s[12:13] offset:480
	s_wait_alu 0xfffd
	v_add_co_ci_u32_e32 v15, vcc_lo, s3, v7, vcc_lo
	s_wait_loadcnt_dscnt 0x0
	v_mul_f64_e32 v[12:13], v[10:11], v[4:5]
	v_mul_f64_e32 v[4:5], v[8:9], v[4:5]
	s_delay_alu instid0(VALU_DEP_2) | instskip(NEXT) | instid1(VALU_DEP_2)
	v_fma_f64 v[8:9], v[8:9], v[2:3], v[12:13]
	v_fma_f64 v[4:5], v[2:3], v[10:11], -v[4:5]
	s_delay_alu instid0(VALU_DEP_2) | instskip(NEXT) | instid1(VALU_DEP_2)
	v_mul_f64_e32 v[2:3], s[0:1], v[8:9]
	v_mul_f64_e32 v[4:5], s[0:1], v[4:5]
	global_store_b128 v[14:15], v[2:5], off
	global_load_b128 v[2:5], v255, s[12:13] offset:960
	ds_load_b128 v[6:9], v253 offset:960
	ds_load_b128 v[10:13], v253 offset:1440
	s_wait_loadcnt_dscnt 0x1
	v_mul_f64_e32 v[16:17], v[8:9], v[4:5]
	v_mul_f64_e32 v[4:5], v[6:7], v[4:5]
	s_delay_alu instid0(VALU_DEP_2) | instskip(NEXT) | instid1(VALU_DEP_2)
	v_fma_f64 v[6:7], v[6:7], v[2:3], v[16:17]
	v_fma_f64 v[4:5], v[2:3], v[8:9], -v[4:5]
	s_delay_alu instid0(VALU_DEP_2) | instskip(NEXT) | instid1(VALU_DEP_2)
	v_mul_f64_e32 v[2:3], s[0:1], v[6:7]
	v_mul_f64_e32 v[4:5], s[0:1], v[4:5]
	v_add_co_u32 v6, vcc_lo, v14, s2
	s_wait_alu 0xfffd
	v_add_co_ci_u32_e32 v7, vcc_lo, s3, v15, vcc_lo
	s_delay_alu instid0(VALU_DEP_2) | instskip(SKIP_1) | instid1(VALU_DEP_2)
	v_add_co_u32 v14, vcc_lo, v6, s2
	s_wait_alu 0xfffd
	v_add_co_ci_u32_e32 v15, vcc_lo, s3, v7, vcc_lo
	global_store_b128 v[6:7], v[2:5], off
	global_load_b128 v[2:5], v255, s[12:13] offset:1440
	s_wait_loadcnt_dscnt 0x0
	v_mul_f64_e32 v[8:9], v[12:13], v[4:5]
	v_mul_f64_e32 v[4:5], v[10:11], v[4:5]
	s_delay_alu instid0(VALU_DEP_2) | instskip(NEXT) | instid1(VALU_DEP_2)
	v_fma_f64 v[8:9], v[10:11], v[2:3], v[8:9]
	v_fma_f64 v[4:5], v[2:3], v[12:13], -v[4:5]
	s_delay_alu instid0(VALU_DEP_2) | instskip(NEXT) | instid1(VALU_DEP_2)
	v_mul_f64_e32 v[2:3], s[0:1], v[8:9]
	v_mul_f64_e32 v[4:5], s[0:1], v[4:5]
	global_store_b128 v[14:15], v[2:5], off
	global_load_b128 v[2:5], v255, s[12:13] offset:1920
	ds_load_b128 v[6:9], v253 offset:1920
	ds_load_b128 v[10:13], v253 offset:2400
	s_wait_loadcnt_dscnt 0x1
	v_mul_f64_e32 v[16:17], v[8:9], v[4:5]
	v_mul_f64_e32 v[4:5], v[6:7], v[4:5]
	s_delay_alu instid0(VALU_DEP_2) | instskip(NEXT) | instid1(VALU_DEP_2)
	v_fma_f64 v[6:7], v[6:7], v[2:3], v[16:17]
	v_fma_f64 v[4:5], v[2:3], v[8:9], -v[4:5]
	s_delay_alu instid0(VALU_DEP_2) | instskip(NEXT) | instid1(VALU_DEP_2)
	v_mul_f64_e32 v[2:3], s[0:1], v[6:7]
	v_mul_f64_e32 v[4:5], s[0:1], v[4:5]
	v_add_co_u32 v6, vcc_lo, v14, s2
	s_wait_alu 0xfffd
	v_add_co_ci_u32_e32 v7, vcc_lo, s3, v15, vcc_lo
	s_delay_alu instid0(VALU_DEP_2) | instskip(SKIP_1) | instid1(VALU_DEP_2)
	v_add_co_u32 v14, vcc_lo, v6, s2
	s_wait_alu 0xfffd
	v_add_co_ci_u32_e32 v15, vcc_lo, s3, v7, vcc_lo
	global_store_b128 v[6:7], v[2:5], off
	global_load_b128 v[2:5], v255, s[12:13] offset:2400
	;; [unrolled: 31-line block ×6, first 2 shown]
	s_wait_loadcnt_dscnt 0x0
	v_mul_f64_e32 v[8:9], v[12:13], v[4:5]
	v_mul_f64_e32 v[4:5], v[10:11], v[4:5]
	s_delay_alu instid0(VALU_DEP_2) | instskip(NEXT) | instid1(VALU_DEP_2)
	v_fma_f64 v[8:9], v[10:11], v[2:3], v[8:9]
	v_fma_f64 v[4:5], v[2:3], v[12:13], -v[4:5]
	s_delay_alu instid0(VALU_DEP_2) | instskip(NEXT) | instid1(VALU_DEP_2)
	v_mul_f64_e32 v[2:3], s[0:1], v[8:9]
	v_mul_f64_e32 v[4:5], s[0:1], v[4:5]
	global_store_b128 v[14:15], v[2:5], off
	global_load_b128 v[2:5], v255, s[12:13] offset:6720
	ds_load_b128 v[6:9], v253 offset:6720
	ds_load_b128 v[10:13], v253 offset:7200
	s_wait_loadcnt_dscnt 0x1
	v_mul_f64_e32 v[16:17], v[8:9], v[4:5]
	v_mul_f64_e32 v[4:5], v[6:7], v[4:5]
	s_delay_alu instid0(VALU_DEP_2) | instskip(NEXT) | instid1(VALU_DEP_2)
	v_fma_f64 v[6:7], v[6:7], v[2:3], v[16:17]
	v_fma_f64 v[4:5], v[2:3], v[8:9], -v[4:5]
	s_delay_alu instid0(VALU_DEP_2) | instskip(NEXT) | instid1(VALU_DEP_2)
	v_mul_f64_e32 v[2:3], s[0:1], v[6:7]
	v_mul_f64_e32 v[4:5], s[0:1], v[4:5]
	v_add_co_u32 v6, vcc_lo, v14, s2
	s_wait_alu 0xfffd
	v_add_co_ci_u32_e32 v7, vcc_lo, s3, v15, vcc_lo
	global_store_b128 v[6:7], v[2:5], off
	global_load_b128 v[2:5], v255, s[12:13] offset:7200
	v_add_co_u32 v6, vcc_lo, v6, s2
	s_wait_alu 0xfffd
	v_add_co_ci_u32_e32 v7, vcc_lo, s3, v7, vcc_lo
	s_wait_loadcnt_dscnt 0x0
	v_mul_f64_e32 v[8:9], v[12:13], v[4:5]
	v_mul_f64_e32 v[4:5], v[10:11], v[4:5]
	s_delay_alu instid0(VALU_DEP_2) | instskip(NEXT) | instid1(VALU_DEP_2)
	v_fma_f64 v[8:9], v[10:11], v[2:3], v[8:9]
	v_fma_f64 v[4:5], v[2:3], v[12:13], -v[4:5]
	s_delay_alu instid0(VALU_DEP_2) | instskip(NEXT) | instid1(VALU_DEP_2)
	v_mul_f64_e32 v[2:3], s[0:1], v[8:9]
	v_mul_f64_e32 v[4:5], s[0:1], v[4:5]
	global_store_b128 v[6:7], v[2:5], off
	global_load_b128 v[2:5], v255, s[12:13] offset:7680
	ds_load_b128 v[6:9], v253 offset:7680
	s_wait_loadcnt_dscnt 0x0
	v_mul_f64_e32 v[10:11], v[8:9], v[4:5]
	v_mul_f64_e32 v[4:5], v[6:7], v[4:5]
	s_delay_alu instid0(VALU_DEP_2) | instskip(SKIP_3) | instid1(VALU_DEP_2)
	v_fma_f64 v[6:7], v[6:7], v[2:3], v[10:11]
	scratch_load_b32 v10, off, off offset:396 th:TH_LOAD_LU ; 4-byte Folded Reload
	v_fma_f64 v[4:5], v[2:3], v[8:9], -v[4:5]
	v_mul_f64_e32 v[2:3], s[0:1], v[6:7]
	v_mul_f64_e32 v[4:5], s[0:1], v[4:5]
	s_wait_loadcnt 0x0
	v_mad_co_u64_u32 v[8:9], null, s4, v10, 0
	s_delay_alu instid0(VALU_DEP_1) | instskip(NEXT) | instid1(VALU_DEP_1)
	v_mov_b32_e32 v6, v9
	v_mad_co_u64_u32 v[6:7], null, s5, v10, v[6:7]
	s_delay_alu instid0(VALU_DEP_1) | instskip(NEXT) | instid1(VALU_DEP_1)
	v_mov_b32_e32 v9, v6
	v_lshlrev_b64_e32 v[6:7], 4, v[8:9]
	s_delay_alu instid0(VALU_DEP_1) | instskip(SKIP_1) | instid1(VALU_DEP_2)
	v_add_co_u32 v0, vcc_lo, v0, v6
	s_wait_alu 0xfffd
	v_add_co_ci_u32_e32 v1, vcc_lo, v1, v7, vcc_lo
	global_store_b128 v[0:1], v[2:5], off
.LBB0_23:
	s_nop 0
	s_sendmsg sendmsg(MSG_DEALLOC_VGPRS)
	s_endpgm
	.section	.rodata,"a",@progbits
	.p2align	6, 0x0
	.amdhsa_kernel bluestein_single_back_len510_dim1_dp_op_CI_CI
		.amdhsa_group_segment_fixed_size 57120
		.amdhsa_private_segment_fixed_size 500
		.amdhsa_kernarg_size 104
		.amdhsa_user_sgpr_count 2
		.amdhsa_user_sgpr_dispatch_ptr 0
		.amdhsa_user_sgpr_queue_ptr 0
		.amdhsa_user_sgpr_kernarg_segment_ptr 1
		.amdhsa_user_sgpr_dispatch_id 0
		.amdhsa_user_sgpr_private_segment_size 0
		.amdhsa_wavefront_size32 1
		.amdhsa_uses_dynamic_stack 0
		.amdhsa_enable_private_segment 1
		.amdhsa_system_sgpr_workgroup_id_x 1
		.amdhsa_system_sgpr_workgroup_id_y 0
		.amdhsa_system_sgpr_workgroup_id_z 0
		.amdhsa_system_sgpr_workgroup_info 0
		.amdhsa_system_vgpr_workitem_id 0
		.amdhsa_next_free_vgpr 256
		.amdhsa_next_free_sgpr 60
		.amdhsa_reserve_vcc 1
		.amdhsa_float_round_mode_32 0
		.amdhsa_float_round_mode_16_64 0
		.amdhsa_float_denorm_mode_32 3
		.amdhsa_float_denorm_mode_16_64 3
		.amdhsa_fp16_overflow 0
		.amdhsa_workgroup_processor_mode 1
		.amdhsa_memory_ordered 1
		.amdhsa_forward_progress 0
		.amdhsa_round_robin_scheduling 0
		.amdhsa_exception_fp_ieee_invalid_op 0
		.amdhsa_exception_fp_denorm_src 0
		.amdhsa_exception_fp_ieee_div_zero 0
		.amdhsa_exception_fp_ieee_overflow 0
		.amdhsa_exception_fp_ieee_underflow 0
		.amdhsa_exception_fp_ieee_inexact 0
		.amdhsa_exception_int_div_zero 0
	.end_amdhsa_kernel
	.text
.Lfunc_end0:
	.size	bluestein_single_back_len510_dim1_dp_op_CI_CI, .Lfunc_end0-bluestein_single_back_len510_dim1_dp_op_CI_CI
                                        ; -- End function
	.section	.AMDGPU.csdata,"",@progbits
; Kernel info:
; codeLenInByte = 25644
; NumSgprs: 62
; NumVgprs: 256
; ScratchSize: 500
; MemoryBound: 0
; FloatMode: 240
; IeeeMode: 1
; LDSByteSize: 57120 bytes/workgroup (compile time only)
; SGPRBlocks: 7
; VGPRBlocks: 31
; NumSGPRsForWavesPerEU: 62
; NumVGPRsForWavesPerEU: 256
; Occupancy: 4
; WaveLimiterHint : 1
; COMPUTE_PGM_RSRC2:SCRATCH_EN: 1
; COMPUTE_PGM_RSRC2:USER_SGPR: 2
; COMPUTE_PGM_RSRC2:TRAP_HANDLER: 0
; COMPUTE_PGM_RSRC2:TGID_X_EN: 1
; COMPUTE_PGM_RSRC2:TGID_Y_EN: 0
; COMPUTE_PGM_RSRC2:TGID_Z_EN: 0
; COMPUTE_PGM_RSRC2:TIDIG_COMP_CNT: 0
	.text
	.p2alignl 7, 3214868480
	.fill 96, 4, 3214868480
	.type	__hip_cuid_703405c23bdf8cb2,@object ; @__hip_cuid_703405c23bdf8cb2
	.section	.bss,"aw",@nobits
	.globl	__hip_cuid_703405c23bdf8cb2
__hip_cuid_703405c23bdf8cb2:
	.byte	0                               ; 0x0
	.size	__hip_cuid_703405c23bdf8cb2, 1

	.ident	"AMD clang version 19.0.0git (https://github.com/RadeonOpenCompute/llvm-project roc-6.4.0 25133 c7fe45cf4b819c5991fe208aaa96edf142730f1d)"
	.section	".note.GNU-stack","",@progbits
	.addrsig
	.addrsig_sym __hip_cuid_703405c23bdf8cb2
	.amdgpu_metadata
---
amdhsa.kernels:
  - .args:
      - .actual_access:  read_only
        .address_space:  global
        .offset:         0
        .size:           8
        .value_kind:     global_buffer
      - .actual_access:  read_only
        .address_space:  global
        .offset:         8
        .size:           8
        .value_kind:     global_buffer
      - .actual_access:  read_only
        .address_space:  global
        .offset:         16
        .size:           8
        .value_kind:     global_buffer
      - .actual_access:  read_only
        .address_space:  global
        .offset:         24
        .size:           8
        .value_kind:     global_buffer
      - .actual_access:  read_only
        .address_space:  global
        .offset:         32
        .size:           8
        .value_kind:     global_buffer
      - .offset:         40
        .size:           8
        .value_kind:     by_value
      - .address_space:  global
        .offset:         48
        .size:           8
        .value_kind:     global_buffer
      - .address_space:  global
        .offset:         56
        .size:           8
        .value_kind:     global_buffer
      - .address_space:  global
        .offset:         64
        .size:           8
        .value_kind:     global_buffer
      - .address_space:  global
        .offset:         72
        .size:           8
        .value_kind:     global_buffer
      - .offset:         80
        .size:           4
        .value_kind:     by_value
      - .address_space:  global
        .offset:         88
        .size:           8
        .value_kind:     global_buffer
      - .address_space:  global
        .offset:         96
        .size:           8
        .value_kind:     global_buffer
    .group_segment_fixed_size: 57120
    .kernarg_segment_align: 8
    .kernarg_segment_size: 104
    .language:       OpenCL C
    .language_version:
      - 2
      - 0
    .max_flat_workgroup_size: 238
    .name:           bluestein_single_back_len510_dim1_dp_op_CI_CI
    .private_segment_fixed_size: 500
    .sgpr_count:     62
    .sgpr_spill_count: 0
    .symbol:         bluestein_single_back_len510_dim1_dp_op_CI_CI.kd
    .uniform_work_group_size: 1
    .uses_dynamic_stack: false
    .vgpr_count:     256
    .vgpr_spill_count: 124
    .wavefront_size: 32
    .workgroup_processor_mode: 1
amdhsa.target:   amdgcn-amd-amdhsa--gfx1201
amdhsa.version:
  - 1
  - 2
...

	.end_amdgpu_metadata
